;; amdgpu-corpus repo=ROCm/rocFFT kind=compiled arch=gfx1030 opt=O3
	.text
	.amdgcn_target "amdgcn-amd-amdhsa--gfx1030"
	.amdhsa_code_object_version 6
	.protected	fft_rtc_back_len1260_factors_2_2_3_3_5_7_wgs_63_tpt_63_halfLds_half_ip_CI_unitstride_sbrr_C2R_dirReg ; -- Begin function fft_rtc_back_len1260_factors_2_2_3_3_5_7_wgs_63_tpt_63_halfLds_half_ip_CI_unitstride_sbrr_C2R_dirReg
	.globl	fft_rtc_back_len1260_factors_2_2_3_3_5_7_wgs_63_tpt_63_halfLds_half_ip_CI_unitstride_sbrr_C2R_dirReg
	.p2align	8
	.type	fft_rtc_back_len1260_factors_2_2_3_3_5_7_wgs_63_tpt_63_halfLds_half_ip_CI_unitstride_sbrr_C2R_dirReg,@function
fft_rtc_back_len1260_factors_2_2_3_3_5_7_wgs_63_tpt_63_halfLds_half_ip_CI_unitstride_sbrr_C2R_dirReg: ; @fft_rtc_back_len1260_factors_2_2_3_3_5_7_wgs_63_tpt_63_halfLds_half_ip_CI_unitstride_sbrr_C2R_dirReg
; %bb.0:
	s_clause 0x2
	s_load_dwordx4 s[8:11], s[4:5], 0x0
	s_load_dwordx2 s[2:3], s[4:5], 0x50
	s_load_dwordx2 s[12:13], s[4:5], 0x18
	v_mul_u32_u24_e32 v1, 0x411, v0
	v_mov_b32_e32 v3, 0
	v_add_nc_u32_sdwa v5, s6, v1 dst_sel:DWORD dst_unused:UNUSED_PAD src0_sel:DWORD src1_sel:WORD_1
	v_mov_b32_e32 v1, 0
	v_mov_b32_e32 v6, v3
	v_mov_b32_e32 v2, 0
	s_waitcnt lgkmcnt(0)
	v_cmp_lt_u64_e64 s0, s[10:11], 2
	s_and_b32 vcc_lo, exec_lo, s0
	s_cbranch_vccnz .LBB0_8
; %bb.1:
	s_load_dwordx2 s[0:1], s[4:5], 0x10
	v_mov_b32_e32 v1, 0
	s_add_u32 s6, s12, 8
	v_mov_b32_e32 v2, 0
	s_addc_u32 s7, s13, 0
	s_mov_b64 s[16:17], 1
	s_waitcnt lgkmcnt(0)
	s_add_u32 s14, s0, 8
	s_addc_u32 s15, s1, 0
.LBB0_2:                                ; =>This Inner Loop Header: Depth=1
	s_load_dwordx2 s[18:19], s[14:15], 0x0
                                        ; implicit-def: $vgpr7_vgpr8
	s_mov_b32 s0, exec_lo
	s_waitcnt lgkmcnt(0)
	v_or_b32_e32 v4, s19, v6
	v_cmpx_ne_u64_e32 0, v[3:4]
	s_xor_b32 s1, exec_lo, s0
	s_cbranch_execz .LBB0_4
; %bb.3:                                ;   in Loop: Header=BB0_2 Depth=1
	v_cvt_f32_u32_e32 v4, s18
	v_cvt_f32_u32_e32 v7, s19
	s_sub_u32 s0, 0, s18
	s_subb_u32 s20, 0, s19
	v_fmac_f32_e32 v4, 0x4f800000, v7
	v_rcp_f32_e32 v4, v4
	v_mul_f32_e32 v4, 0x5f7ffffc, v4
	v_mul_f32_e32 v7, 0x2f800000, v4
	v_trunc_f32_e32 v7, v7
	v_fmac_f32_e32 v4, 0xcf800000, v7
	v_cvt_u32_f32_e32 v7, v7
	v_cvt_u32_f32_e32 v4, v4
	v_mul_lo_u32 v8, s0, v7
	v_mul_hi_u32 v9, s0, v4
	v_mul_lo_u32 v10, s20, v4
	v_add_nc_u32_e32 v8, v9, v8
	v_mul_lo_u32 v9, s0, v4
	v_add_nc_u32_e32 v8, v8, v10
	v_mul_hi_u32 v10, v4, v9
	v_mul_lo_u32 v11, v4, v8
	v_mul_hi_u32 v12, v4, v8
	v_mul_hi_u32 v13, v7, v9
	v_mul_lo_u32 v9, v7, v9
	v_mul_hi_u32 v14, v7, v8
	v_mul_lo_u32 v8, v7, v8
	v_add_co_u32 v10, vcc_lo, v10, v11
	v_add_co_ci_u32_e32 v11, vcc_lo, 0, v12, vcc_lo
	v_add_co_u32 v9, vcc_lo, v10, v9
	v_add_co_ci_u32_e32 v9, vcc_lo, v11, v13, vcc_lo
	v_add_co_ci_u32_e32 v10, vcc_lo, 0, v14, vcc_lo
	v_add_co_u32 v8, vcc_lo, v9, v8
	v_add_co_ci_u32_e32 v9, vcc_lo, 0, v10, vcc_lo
	v_add_co_u32 v4, vcc_lo, v4, v8
	v_add_co_ci_u32_e32 v7, vcc_lo, v7, v9, vcc_lo
	v_mul_hi_u32 v8, s0, v4
	v_mul_lo_u32 v10, s20, v4
	v_mul_lo_u32 v9, s0, v7
	v_add_nc_u32_e32 v8, v8, v9
	v_mul_lo_u32 v9, s0, v4
	v_add_nc_u32_e32 v8, v8, v10
	v_mul_hi_u32 v10, v4, v9
	v_mul_lo_u32 v11, v4, v8
	v_mul_hi_u32 v12, v4, v8
	v_mul_hi_u32 v13, v7, v9
	v_mul_lo_u32 v9, v7, v9
	v_mul_hi_u32 v14, v7, v8
	v_mul_lo_u32 v8, v7, v8
	v_add_co_u32 v10, vcc_lo, v10, v11
	v_add_co_ci_u32_e32 v11, vcc_lo, 0, v12, vcc_lo
	v_add_co_u32 v9, vcc_lo, v10, v9
	v_add_co_ci_u32_e32 v9, vcc_lo, v11, v13, vcc_lo
	v_add_co_ci_u32_e32 v10, vcc_lo, 0, v14, vcc_lo
	v_add_co_u32 v8, vcc_lo, v9, v8
	v_add_co_ci_u32_e32 v9, vcc_lo, 0, v10, vcc_lo
	v_add_co_u32 v4, vcc_lo, v4, v8
	v_add_co_ci_u32_e32 v11, vcc_lo, v7, v9, vcc_lo
	v_mul_hi_u32 v13, v5, v4
	v_mad_u64_u32 v[9:10], null, v6, v4, 0
	v_mad_u64_u32 v[7:8], null, v5, v11, 0
	;; [unrolled: 1-line block ×3, first 2 shown]
	v_add_co_u32 v4, vcc_lo, v13, v7
	v_add_co_ci_u32_e32 v7, vcc_lo, 0, v8, vcc_lo
	v_add_co_u32 v4, vcc_lo, v4, v9
	v_add_co_ci_u32_e32 v4, vcc_lo, v7, v10, vcc_lo
	v_add_co_ci_u32_e32 v7, vcc_lo, 0, v12, vcc_lo
	v_add_co_u32 v4, vcc_lo, v4, v11
	v_add_co_ci_u32_e32 v9, vcc_lo, 0, v7, vcc_lo
	v_mul_lo_u32 v10, s19, v4
	v_mad_u64_u32 v[7:8], null, s18, v4, 0
	v_mul_lo_u32 v11, s18, v9
	v_sub_co_u32 v7, vcc_lo, v5, v7
	v_add3_u32 v8, v8, v11, v10
	v_sub_nc_u32_e32 v10, v6, v8
	v_subrev_co_ci_u32_e64 v10, s0, s19, v10, vcc_lo
	v_add_co_u32 v11, s0, v4, 2
	v_add_co_ci_u32_e64 v12, s0, 0, v9, s0
	v_sub_co_u32 v13, s0, v7, s18
	v_sub_co_ci_u32_e32 v8, vcc_lo, v6, v8, vcc_lo
	v_subrev_co_ci_u32_e64 v10, s0, 0, v10, s0
	v_cmp_le_u32_e32 vcc_lo, s18, v13
	v_cmp_eq_u32_e64 s0, s19, v8
	v_cndmask_b32_e64 v13, 0, -1, vcc_lo
	v_cmp_le_u32_e32 vcc_lo, s19, v10
	v_cndmask_b32_e64 v14, 0, -1, vcc_lo
	v_cmp_le_u32_e32 vcc_lo, s18, v7
	;; [unrolled: 2-line block ×3, first 2 shown]
	v_cndmask_b32_e64 v15, 0, -1, vcc_lo
	v_cmp_eq_u32_e32 vcc_lo, s19, v10
	v_cndmask_b32_e64 v7, v15, v7, s0
	v_cndmask_b32_e32 v10, v14, v13, vcc_lo
	v_add_co_u32 v13, vcc_lo, v4, 1
	v_add_co_ci_u32_e32 v14, vcc_lo, 0, v9, vcc_lo
	v_cmp_ne_u32_e32 vcc_lo, 0, v10
	v_cndmask_b32_e32 v8, v14, v12, vcc_lo
	v_cndmask_b32_e32 v10, v13, v11, vcc_lo
	v_cmp_ne_u32_e32 vcc_lo, 0, v7
	v_cndmask_b32_e32 v8, v9, v8, vcc_lo
	v_cndmask_b32_e32 v7, v4, v10, vcc_lo
.LBB0_4:                                ;   in Loop: Header=BB0_2 Depth=1
	s_andn2_saveexec_b32 s0, s1
	s_cbranch_execz .LBB0_6
; %bb.5:                                ;   in Loop: Header=BB0_2 Depth=1
	v_cvt_f32_u32_e32 v4, s18
	s_sub_i32 s1, 0, s18
	v_rcp_iflag_f32_e32 v4, v4
	v_mul_f32_e32 v4, 0x4f7ffffe, v4
	v_cvt_u32_f32_e32 v4, v4
	v_mul_lo_u32 v7, s1, v4
	v_mul_hi_u32 v7, v4, v7
	v_add_nc_u32_e32 v4, v4, v7
	v_mul_hi_u32 v4, v5, v4
	v_mul_lo_u32 v7, v4, s18
	v_add_nc_u32_e32 v8, 1, v4
	v_sub_nc_u32_e32 v7, v5, v7
	v_subrev_nc_u32_e32 v9, s18, v7
	v_cmp_le_u32_e32 vcc_lo, s18, v7
	v_cndmask_b32_e32 v7, v7, v9, vcc_lo
	v_cndmask_b32_e32 v4, v4, v8, vcc_lo
	v_cmp_le_u32_e32 vcc_lo, s18, v7
	v_add_nc_u32_e32 v8, 1, v4
	v_cndmask_b32_e32 v7, v4, v8, vcc_lo
	v_mov_b32_e32 v8, v3
.LBB0_6:                                ;   in Loop: Header=BB0_2 Depth=1
	s_or_b32 exec_lo, exec_lo, s0
	s_load_dwordx2 s[0:1], s[6:7], 0x0
	v_mul_lo_u32 v4, v8, s18
	v_mul_lo_u32 v11, v7, s19
	v_mad_u64_u32 v[9:10], null, v7, s18, 0
	s_add_u32 s16, s16, 1
	s_addc_u32 s17, s17, 0
	s_add_u32 s6, s6, 8
	s_addc_u32 s7, s7, 0
	;; [unrolled: 2-line block ×3, first 2 shown]
	v_add3_u32 v4, v10, v11, v4
	v_sub_co_u32 v5, vcc_lo, v5, v9
	v_sub_co_ci_u32_e32 v4, vcc_lo, v6, v4, vcc_lo
	s_waitcnt lgkmcnt(0)
	v_mul_lo_u32 v6, s1, v5
	v_mul_lo_u32 v4, s0, v4
	v_mad_u64_u32 v[1:2], null, s0, v5, v[1:2]
	v_cmp_ge_u64_e64 s0, s[16:17], s[10:11]
	s_and_b32 vcc_lo, exec_lo, s0
	v_add3_u32 v2, v6, v2, v4
	s_cbranch_vccnz .LBB0_9
; %bb.7:                                ;   in Loop: Header=BB0_2 Depth=1
	v_mov_b32_e32 v5, v7
	v_mov_b32_e32 v6, v8
	s_branch .LBB0_2
.LBB0_8:
	v_mov_b32_e32 v8, v6
	v_mov_b32_e32 v7, v5
.LBB0_9:
	s_lshl_b64 s[0:1], s[10:11], 3
	v_mul_hi_u32 v5, 0x4104105, v0
	s_add_u32 s0, s12, s0
	s_addc_u32 s1, s13, s1
	s_load_dwordx2 s[0:1], s[0:1], 0x0
	s_load_dwordx2 s[4:5], s[4:5], 0x20
	s_waitcnt lgkmcnt(0)
	v_mul_lo_u32 v3, s0, v8
	v_mul_lo_u32 v4, s1, v7
	v_mad_u64_u32 v[1:2], null, s0, v7, v[1:2]
	v_cmp_gt_u64_e32 vcc_lo, s[4:5], v[7:8]
	v_add3_u32 v2, v4, v2, v3
	v_mul_u32_u24_e32 v3, 63, v5
	v_lshlrev_b64 v[18:19], 2, v[1:2]
	v_sub_nc_u32_e32 v16, v0, v3
	s_and_saveexec_b32 s1, vcc_lo
	s_cbranch_execz .LBB0_13
; %bb.10:
	v_mov_b32_e32 v17, 0
	v_add_co_u32 v0, s0, s2, v18
	v_add_co_ci_u32_e64 v1, s0, s3, v19, s0
	v_lshlrev_b64 v[2:3], 2, v[16:17]
	s_mov_b32 s4, exec_lo
	v_add_co_u32 v2, s0, v0, v2
	v_add_co_ci_u32_e64 v3, s0, v1, v3, s0
	s_clause 0x7
	global_load_dword v8, v[2:3], off
	global_load_dword v9, v[2:3], off offset:252
	global_load_dword v10, v[2:3], off offset:504
	;; [unrolled: 1-line block ×7, first 2 shown]
	v_add_co_u32 v4, s0, 0x800, v2
	v_add_co_ci_u32_e64 v5, s0, 0, v3, s0
	v_add_co_u32 v6, s0, 0x1000, v2
	v_add_co_ci_u32_e64 v7, s0, 0, v3, s0
	s_clause 0xb
	global_load_dword v2, v[2:3], off offset:2016
	global_load_dword v3, v[4:5], off offset:220
	;; [unrolled: 1-line block ×12, first 2 shown]
	v_lshl_add_u32 v7, v16, 2, 0
	v_add_nc_u32_e32 v27, 0x200, v7
	v_add_nc_u32_e32 v28, 0x400, v7
	;; [unrolled: 1-line block ×8, first 2 shown]
	s_waitcnt vmcnt(18)
	ds_write2_b32 v7, v8, v9 offset1:63
	s_waitcnt vmcnt(16)
	ds_write2_b32 v7, v10, v11 offset0:126 offset1:189
	s_waitcnt vmcnt(14)
	ds_write2_b32 v27, v12, v13 offset0:124 offset1:187
	;; [unrolled: 2-line block ×9, first 2 shown]
	v_cmpx_eq_u32_e32 62, v16
	s_cbranch_execz .LBB0_12
; %bb.11:
	v_add_co_u32 v0, s0, 0x1000, v0
	v_add_co_ci_u32_e64 v1, s0, 0, v1, s0
	v_mov_b32_e32 v16, 62
	global_load_dword v0, v[0:1], off offset:944
	s_waitcnt vmcnt(0)
	ds_write_b32 v17, v0 offset:5040
.LBB0_12:
	s_or_b32 exec_lo, exec_lo, s4
.LBB0_13:
	s_or_b32 exec_lo, exec_lo, s1
	v_lshlrev_b32_e32 v0, 2, v16
	s_waitcnt lgkmcnt(0)
	s_barrier
	buffer_gl0_inv
	s_add_u32 s1, s8, 0x13a8
	v_add_nc_u32_e32 v26, 0, v0
	v_sub_nc_u32_e32 v2, 0, v0
	s_addc_u32 s4, s9, 0
	s_mov_b32 s5, exec_lo
                                        ; implicit-def: $vgpr0_vgpr1
	ds_read_u16 v5, v26
	ds_read_u16 v6, v2 offset:5040
	s_waitcnt lgkmcnt(0)
	v_add_f16_e32 v4, v6, v5
	v_sub_f16_e32 v3, v5, v6
	v_cmpx_ne_u32_e32 0, v16
	s_xor_b32 s5, exec_lo, s5
	s_cbranch_execz .LBB0_15
; %bb.14:
	v_mov_b32_e32 v17, 0
	v_add_f16_e32 v4, v6, v5
	v_sub_f16_e32 v5, v5, v6
	v_lshlrev_b64 v[0:1], 2, v[16:17]
	v_add_co_u32 v0, s0, s1, v0
	v_add_co_ci_u32_e64 v1, s0, s4, v1, s0
	global_load_dword v0, v[0:1], off
	ds_read_u16 v1, v2 offset:5042
	ds_read_u16 v3, v26 offset:2
	s_waitcnt lgkmcnt(0)
	v_add_f16_e32 v6, v1, v3
	v_sub_f16_e32 v1, v3, v1
	s_waitcnt vmcnt(0)
	v_lshrrev_b32_e32 v7, 16, v0
	v_fma_f16 v8, -v5, v7, v4
	v_fma_f16 v9, v6, v7, -v1
	v_fma_f16 v3, v6, v7, v1
	v_fma_f16 v4, v5, v7, v4
	v_fmac_f16_e32 v8, v0, v6
	v_fmac_f16_e32 v9, v5, v0
	;; [unrolled: 1-line block ×3, first 2 shown]
	v_fma_f16 v4, -v0, v6, v4
	v_mov_b32_e32 v0, v16
	v_mov_b32_e32 v1, v17
	v_pack_b32_f16 v5, v8, v9
	ds_write_b32 v2, v5 offset:5040
.LBB0_15:
	s_andn2_saveexec_b32 s0, s5
	s_cbranch_execz .LBB0_17
; %bb.16:
	v_mov_b32_e32 v5, 0
	ds_read_b32 v0, v5 offset:2520
	s_waitcnt lgkmcnt(0)
	v_pk_mul_f16 v6, 0xc0004000, v0
	v_mov_b32_e32 v0, 0
	v_mov_b32_e32 v1, 0
	ds_write_b32 v5, v6 offset:2520
.LBB0_17:
	s_or_b32 exec_lo, exec_lo, s0
	v_lshlrev_b64 v[0:1], 2, v[0:1]
	v_perm_b32 v3, v3, v4, 0x5040100
	v_add_nc_u32_e32 v34, 0x800, v26
	v_add_nc_u32_e32 v35, 0xa00, v26
	;; [unrolled: 1-line block ×4, first 2 shown]
	v_add_co_u32 v0, s0, s1, v0
	v_add_co_ci_u32_e64 v1, s0, s4, v1, s0
	v_add_nc_u32_e32 v38, 0x400, v26
	v_add_nc_u32_e32 v39, 0xe00, v26
	;; [unrolled: 1-line block ×3, first 2 shown]
	s_clause 0x6
	global_load_dword v5, v[0:1], off offset:252
	global_load_dword v6, v[0:1], off offset:504
	;; [unrolled: 1-line block ×7, first 2 shown]
	ds_write_b32 v26, v3
	ds_read_b32 v3, v26 offset:252
	ds_read_b32 v4, v2 offset:4788
	global_load_dword v12, v[0:1], off offset:2016
	v_add_co_u32 v0, s0, 0x800, v0
	v_add_co_ci_u32_e64 v1, s0, 0, v1, s0
	v_add_nc_u32_e32 v41, 0x1000, v26
	v_add_nc_u32_e32 v32, 0x237, v16
	;; [unrolled: 1-line block ×6, first 2 shown]
	v_and_b32_e32 v56, 1, v32
	v_and_b32_e32 v55, 1, v30
	;; [unrolled: 1-line block ×4, first 2 shown]
	v_add_nc_u32_e32 v27, 0xfc, v16
	v_add_nc_u32_e32 v24, 0x17a, v16
	v_and_b32_e32 v42, 1, v16
	v_add_nc_u32_e32 v31, 0x1f8, v16
	s_waitcnt lgkmcnt(0)
	v_add_f16_e32 v13, v3, v4
	v_add_f16_sdwa v14, v4, v3 dst_sel:DWORD dst_unused:UNUSED_PAD src0_sel:WORD_1 src1_sel:WORD_1
	v_sub_f16_e32 v15, v3, v4
	v_sub_f16_sdwa v3, v3, v4 dst_sel:DWORD dst_unused:UNUSED_PAD src0_sel:WORD_1 src1_sel:WORD_1
	v_lshl_add_u32 v33, v16, 2, v26
	v_and_b32_e32 v57, 1, v22
	v_lshlrev_b32_e32 v61, 2, v56
	v_lshl_add_u32 v43, v22, 3, 0
	v_lshlrev_b32_e32 v60, 2, v55
	v_lshlrev_b32_e32 v59, 2, v54
	v_lshl_add_u32 v45, v23, 3, 0
	v_lshlrev_b32_e32 v58, 2, v53
	v_lshl_add_u32 v46, v27, 3, 0
	v_lshl_add_u32 v47, v25, 3, 0
	;; [unrolled: 1-line block ×3, first 2 shown]
	v_lshlrev_b32_e32 v52, 2, v42
	v_lshl_add_u32 v49, v30, 3, 0
	v_lshl_add_u32 v50, v31, 3, 0
	;; [unrolled: 1-line block ×3, first 2 shown]
	v_lshlrev_b32_e32 v62, 2, v57
	v_cmp_gt_u32_e64 s0, 42, v16
	s_waitcnt vmcnt(7)
	v_lshrrev_b32_e32 v17, 16, v5
	v_fma_f16 v4, v15, v17, v13
	v_fma_f16 v20, v14, v17, v3
	v_fma_f16 v13, -v15, v17, v13
	v_fma_f16 v3, v14, v17, -v3
	v_add_nc_u32_e32 v17, 0x7e, v16
	v_fma_f16 v4, -v5, v14, v4
	v_fmac_f16_e32 v20, v15, v5
	v_fmac_f16_e32 v13, v5, v14
	;; [unrolled: 1-line block ×3, first 2 shown]
	s_waitcnt vmcnt(6)
	v_lshrrev_b32_e32 v5, 16, v6
	v_lshl_add_u32 v44, v17, 3, 0
	v_pack_b32_f16 v4, v4, v20
	v_pack_b32_f16 v3, v13, v3
	ds_write_b32 v26, v4 offset:252
	ds_write_b32 v2, v3 offset:4788
	ds_read_b32 v3, v26 offset:504
	ds_read_b32 v4, v2 offset:4536
	global_load_dword v0, v[0:1], off offset:220
	s_waitcnt lgkmcnt(0)
	v_add_f16_e32 v13, v3, v4
	v_add_f16_sdwa v14, v4, v3 dst_sel:DWORD dst_unused:UNUSED_PAD src0_sel:WORD_1 src1_sel:WORD_1
	v_sub_f16_e32 v15, v3, v4
	v_sub_f16_sdwa v3, v3, v4 dst_sel:DWORD dst_unused:UNUSED_PAD src0_sel:WORD_1 src1_sel:WORD_1
	v_fma_f16 v1, v15, v5, v13
	v_fma_f16 v4, v14, v5, v3
	v_fma_f16 v13, -v15, v5, v13
	v_fma_f16 v3, v14, v5, -v3
	v_fma_f16 v1, -v6, v14, v1
	v_fmac_f16_e32 v4, v15, v6
	v_fmac_f16_e32 v13, v6, v14
	;; [unrolled: 1-line block ×3, first 2 shown]
	v_pack_b32_f16 v1, v1, v4
	s_waitcnt vmcnt(6)
	v_lshrrev_b32_e32 v4, 16, v7
	v_pack_b32_f16 v3, v13, v3
	ds_write_b32 v26, v1 offset:504
	ds_write_b32 v2, v3 offset:4536
	ds_read_b32 v1, v26 offset:756
	ds_read_b32 v3, v2 offset:4284
	s_waitcnt lgkmcnt(0)
	v_add_f16_e32 v5, v1, v3
	v_add_f16_sdwa v6, v3, v1 dst_sel:DWORD dst_unused:UNUSED_PAD src0_sel:WORD_1 src1_sel:WORD_1
	v_sub_f16_e32 v13, v1, v3
	v_sub_f16_sdwa v1, v1, v3 dst_sel:DWORD dst_unused:UNUSED_PAD src0_sel:WORD_1 src1_sel:WORD_1
	v_fma_f16 v3, v13, v4, v5
	v_fma_f16 v14, v6, v4, v1
	v_fma_f16 v5, -v13, v4, v5
	v_fma_f16 v1, v6, v4, -v1
	s_waitcnt vmcnt(5)
	v_lshrrev_b32_e32 v4, 16, v8
	v_fma_f16 v3, -v7, v6, v3
	v_fmac_f16_e32 v14, v13, v7
	v_fmac_f16_e32 v5, v7, v6
	v_fmac_f16_e32 v1, v13, v7
	v_pack_b32_f16 v3, v3, v14
	v_pack_b32_f16 v1, v5, v1
	ds_write_b32 v26, v3 offset:756
	ds_write_b32 v2, v1 offset:4284
	ds_read_b32 v1, v26 offset:1008
	ds_read_b32 v3, v2 offset:4032
	s_waitcnt lgkmcnt(0)
	v_add_f16_e32 v5, v1, v3
	v_add_f16_sdwa v6, v3, v1 dst_sel:DWORD dst_unused:UNUSED_PAD src0_sel:WORD_1 src1_sel:WORD_1
	v_sub_f16_e32 v7, v1, v3
	v_sub_f16_sdwa v1, v1, v3 dst_sel:DWORD dst_unused:UNUSED_PAD src0_sel:WORD_1 src1_sel:WORD_1
	v_fma_f16 v3, v7, v4, v5
	v_fma_f16 v13, v6, v4, v1
	v_fma_f16 v5, -v7, v4, v5
	v_fma_f16 v1, v6, v4, -v1
	s_waitcnt vmcnt(4)
	v_lshrrev_b32_e32 v4, 16, v9
	v_fma_f16 v3, -v8, v6, v3
	v_fmac_f16_e32 v13, v7, v8
	v_fmac_f16_e32 v5, v8, v6
	v_fmac_f16_e32 v1, v7, v8
	v_pack_b32_f16 v3, v3, v13
	;; [unrolled: 21-line block ×5, first 2 shown]
	v_pack_b32_f16 v1, v5, v1
	ds_write_b32 v26, v3 offset:1764
	ds_write_b32 v2, v1 offset:3276
	ds_read_b32 v1, v26 offset:2016
	ds_read_b32 v3, v2 offset:3024
	s_waitcnt lgkmcnt(0)
	v_add_f16_e32 v5, v1, v3
	v_add_f16_sdwa v6, v3, v1 dst_sel:DWORD dst_unused:UNUSED_PAD src0_sel:WORD_1 src1_sel:WORD_1
	v_sub_f16_e32 v7, v1, v3
	v_sub_f16_sdwa v1, v1, v3 dst_sel:DWORD dst_unused:UNUSED_PAD src0_sel:WORD_1 src1_sel:WORD_1
	v_fma_f16 v3, v7, v4, v5
	v_fma_f16 v8, v6, v4, v1
	v_fma_f16 v5, -v7, v4, v5
	v_fma_f16 v1, v6, v4, -v1
	v_fma_f16 v3, -v12, v6, v3
	v_fmac_f16_e32 v8, v7, v12
	v_fmac_f16_e32 v5, v12, v6
	;; [unrolled: 1-line block ×3, first 2 shown]
	v_pack_b32_f16 v3, v3, v8
	v_pack_b32_f16 v1, v5, v1
	ds_write_b32 v26, v3 offset:2016
	ds_write_b32 v2, v1 offset:3024
	ds_read_b32 v1, v26 offset:2268
	ds_read_b32 v3, v2 offset:2772
	s_waitcnt vmcnt(0)
	v_lshrrev_b32_e32 v4, 16, v0
	s_waitcnt lgkmcnt(0)
	v_add_f16_e32 v5, v1, v3
	v_add_f16_sdwa v6, v3, v1 dst_sel:DWORD dst_unused:UNUSED_PAD src0_sel:WORD_1 src1_sel:WORD_1
	v_sub_f16_e32 v7, v1, v3
	v_sub_f16_sdwa v1, v1, v3 dst_sel:DWORD dst_unused:UNUSED_PAD src0_sel:WORD_1 src1_sel:WORD_1
	v_fma_f16 v3, v7, v4, v5
	v_fma_f16 v8, v6, v4, v1
	v_fma_f16 v5, -v7, v4, v5
	v_fma_f16 v1, v6, v4, -v1
	v_fma_f16 v3, -v0, v6, v3
	v_fmac_f16_e32 v8, v7, v0
	v_fmac_f16_e32 v5, v0, v6
	;; [unrolled: 1-line block ×3, first 2 shown]
	v_pack_b32_f16 v0, v3, v8
	v_pack_b32_f16 v1, v5, v1
	ds_write_b32 v26, v0 offset:2268
	ds_write_b32 v2, v1 offset:2772
	s_waitcnt lgkmcnt(0)
	s_barrier
	buffer_gl0_inv
	s_barrier
	buffer_gl0_inv
	ds_read2_b32 v[0:1], v26 offset1:63
	ds_read2_b32 v[2:3], v34 offset0:118 offset1:181
	ds_read2_b32 v[4:5], v26 offset0:126 offset1:189
	;; [unrolled: 1-line block ×9, first 2 shown]
	s_waitcnt lgkmcnt(0)
	s_barrier
	buffer_gl0_inv
	v_pk_add_f16 v2, v0, v2 neg_lo:[0,1] neg_hi:[0,1]
	v_pk_add_f16 v3, v1, v3 neg_lo:[0,1] neg_hi:[0,1]
	v_pk_add_f16 v6, v4, v6 neg_lo:[0,1] neg_hi:[0,1]
	v_pk_add_f16 v7, v5, v7 neg_lo:[0,1] neg_hi:[0,1]
	v_pk_add_f16 v10, v8, v10 neg_lo:[0,1] neg_hi:[0,1]
	v_pk_add_f16 v11, v9, v11 neg_lo:[0,1] neg_hi:[0,1]
	v_pk_add_f16 v14, v12, v14 neg_lo:[0,1] neg_hi:[0,1]
	v_pk_add_f16 v15, v13, v15 neg_lo:[0,1] neg_hi:[0,1]
	v_pk_add_f16 v28, v20, v28 neg_lo:[0,1] neg_hi:[0,1]
	v_pk_add_f16 v29, v21, v29 neg_lo:[0,1] neg_hi:[0,1]
	v_pk_fma_f16 v0, v0, 2.0, v2 op_sel_hi:[1,0,1] neg_lo:[0,0,1] neg_hi:[0,0,1]
	v_pk_fma_f16 v1, v1, 2.0, v3 op_sel_hi:[1,0,1] neg_lo:[0,0,1] neg_hi:[0,0,1]
	;; [unrolled: 1-line block ×10, first 2 shown]
	ds_write2_b32 v33, v0, v2 offset1:1
	ds_write2_b32 v43, v1, v3 offset1:1
	;; [unrolled: 1-line block ×10, first 2 shown]
	s_waitcnt lgkmcnt(0)
	s_barrier
	buffer_gl0_inv
	s_clause 0x8
	global_load_ushort v28, v61, s[8:9] offset:2
	global_load_ushort v29, v60, s[8:9] offset:2
	;; [unrolled: 1-line block ×3, first 2 shown]
	global_load_dword v43, v58, s[8:9]
	global_load_dword v44, v52, s[8:9]
	global_load_ushort v45, v60, s[8:9]
	global_load_ushort v46, v61, s[8:9]
	;; [unrolled: 1-line block ×3, first 2 shown]
	global_load_dword v48, v62, s[8:9]
	v_lshlrev_b32_e32 v0, 1, v16
	v_lshlrev_b32_e32 v1, 1, v22
	;; [unrolled: 1-line block ×5, first 2 shown]
	v_and_or_b32 v0, 0x7c, v0, v42
	v_lshlrev_b32_e32 v5, 1, v25
	v_lshlrev_b32_e32 v6, 1, v24
	;; [unrolled: 1-line block ×5, first 2 shown]
	v_lshl_add_u32 v49, v0, 2, 0
	v_and_or_b32 v0, 0xfc, v1, v57
	v_and_or_b32 v1, 0x1fc, v2, v42
	v_and_or_b32 v10, 0x1fc, v3, v53
	v_and_or_b32 v11, 0x3fc, v4, v42
	v_and_or_b32 v12, 0x2fc, v5, v54
	v_and_or_b32 v13, 0x3fc, v6, v42
	v_and_or_b32 v14, 0x3fc, v7, v55
	v_and_or_b32 v15, 0x7fc, v8, v42
	v_and_or_b32 v20, 0x4fc, v9, v56
	v_lshl_add_u32 v42, v0, 2, 0
	v_lshl_add_u32 v50, v1, 2, 0
	ds_read2_b32 v[0:1], v41 offset0:110 offset1:173
	ds_read2_b32 v[2:3], v39 offset0:112 offset1:175
	;; [unrolled: 1-line block ×5, first 2 shown]
	v_lshl_add_u32 v35, v10, 2, 0
	v_lshl_add_u32 v51, v11, 2, 0
	;; [unrolled: 1-line block ×7, first 2 shown]
	ds_read2_b32 v[10:11], v26 offset1:63
	ds_read2_b32 v[12:13], v26 offset0:126 offset1:189
	ds_read2_b32 v[14:15], v36 offset0:124 offset1:187
	;; [unrolled: 1-line block ×4, first 2 shown]
	s_waitcnt vmcnt(0) lgkmcnt(0)
	s_barrier
	buffer_gl0_inv
	v_pk_mul_f16 v28, v1, v28 op_sel_hi:[1,0]
	v_pk_mul_f16 v29, v3, v29 op_sel_hi:[1,0]
	;; [unrolled: 1-line block ×3, first 2 shown]
	v_pk_mul_f16 v33, v43, v7 op_sel:[0,1]
	v_pk_mul_f16 v61, v44, v8 op_sel:[0,1]
	;; [unrolled: 1-line block ×7, first 2 shown]
	v_pk_fma_f16 v62, v43, v7, v33 op_sel:[0,0,1] op_sel_hi:[1,1,0]
	v_pk_fma_f16 v7, v43, v7, v33 op_sel:[0,0,1] op_sel_hi:[1,0,0] neg_lo:[1,0,0] neg_hi:[1,0,0]
	v_pk_fma_f16 v43, v3, v45, v29 op_sel:[0,0,1] op_sel_hi:[1,1,0]
	v_pk_fma_f16 v3, v3, v45, v29 op_sel:[0,0,1] op_sel_hi:[1,0,0] neg_lo:[0,0,1] neg_hi:[0,0,1]
	;; [unrolled: 2-line block ×10, first 2 shown]
	v_bfi_b32 v8, 0xffff, v47, v8
	v_bfi_b32 v1, 0xffff, v40, v1
	;; [unrolled: 1-line block ×10, first 2 shown]
	v_pk_add_f16 v8, v10, v8 neg_lo:[0,1] neg_hi:[0,1]
	v_pk_add_f16 v30, v32, v1 neg_lo:[0,1] neg_hi:[0,1]
	;; [unrolled: 1-line block ×10, first 2 shown]
	v_pk_fma_f16 v10, v10, 2.0, v8 op_sel_hi:[1,0,1] neg_lo:[0,0,1] neg_hi:[0,0,1]
	v_pk_fma_f16 v11, v11, 2.0, v7 op_sel_hi:[1,0,1] neg_lo:[0,0,1] neg_hi:[0,0,1]
	;; [unrolled: 1-line block ×10, first 2 shown]
	ds_write2_b32 v49, v10, v8 offset1:2
	ds_write2_b32 v42, v11, v7 offset1:2
	;; [unrolled: 1-line block ×10, first 2 shown]
	s_waitcnt lgkmcnt(0)
	s_barrier
	buffer_gl0_inv
	ds_read2_b32 v[0:1], v26 offset1:63
	ds_read2_b32 v[8:9], v38 offset0:164 offset1:227
	ds_read2_b32 v[6:7], v37 offset0:72 offset1:135
	;; [unrolled: 1-line block ×8, first 2 shown]
	v_lshrrev_b32_e32 v29, 16, v28
	v_lshrrev_b32_e32 v32, 16, v30
                                        ; implicit-def: $vgpr34
                                        ; implicit-def: $vgpr33
	s_and_saveexec_b32 s1, s0
	s_cbranch_execz .LBB0_19
; %bb.18:
	ds_read_b32 v28, v26 offset:1512
	ds_read_b32 v30, v26 offset:3192
	;; [unrolled: 1-line block ×3, first 2 shown]
	s_waitcnt lgkmcnt(2)
	v_lshrrev_b32_e32 v29, 16, v28
	s_waitcnt lgkmcnt(1)
	v_lshrrev_b32_e32 v32, 16, v30
	;; [unrolled: 2-line block ×3, first 2 shown]
.LBB0_19:
	s_or_b32 exec_lo, exec_lo, s1
	v_and_b32_e32 v31, 3, v24
	v_and_b32_e32 v39, 3, v23
	;; [unrolled: 1-line block ×5, first 2 shown]
	v_lshlrev_b32_e32 v40, 3, v31
	v_lshlrev_b32_e32 v35, 3, v39
	;; [unrolled: 1-line block ×4, first 2 shown]
	v_and_b32_e32 v52, 3, v22
	s_clause 0x7
	global_load_dword v43, v40, s[8:9] offset:8
	global_load_dwordx2 v[35:36], v35, s[8:9] offset:8
	global_load_dword v45, v44, s[8:9] offset:8
	global_load_dwordx2 v[37:38], v37, s[8:9] offset:8
	global_load_dword v46, v40, s[8:9] offset:10
	global_load_dword v47, v40, s[8:9] offset:12
	;; [unrolled: 1-line block ×4, first 2 shown]
	v_lshlrev_b32_e32 v51, 3, v48
	v_lshlrev_b32_e32 v53, 3, v52
	global_load_ushort v44, v44, s[8:9] offset:14
	v_lshrrev_b32_e32 v67, 2, v22
	v_lshrrev_b32_e32 v68, 2, v17
	s_clause 0x2
	global_load_ushort v51, v51, s[8:9] offset:8
	global_load_ushort v40, v40, s[8:9] offset:14
	;; [unrolled: 1-line block ×3, first 2 shown]
	v_lshrrev_b32_e32 v69, 2, v16
	v_lshrrev_b32_e32 v70, 2, v23
	v_lshrrev_b32_e32 v71, 2, v27
	s_waitcnt lgkmcnt(4)
	v_lshrrev_b32_e32 v54, 16, v20
	v_lshrrev_b32_e32 v56, 16, v21
	;; [unrolled: 1-line block ×7, first 2 shown]
	v_mul_u32_u24_e32 v67, 12, v67
	v_mul_u32_u24_e32 v68, 12, v68
	;; [unrolled: 1-line block ×5, first 2 shown]
	s_waitcnt lgkmcnt(3)
	v_lshrrev_b32_e32 v55, 16, v15
	v_lshrrev_b32_e32 v59, 16, v14
	s_waitcnt lgkmcnt(1)
	v_lshrrev_b32_e32 v62, 16, v10
	s_waitcnt lgkmcnt(0)
	v_lshrrev_b32_e32 v63, 16, v12
	v_lshrrev_b32_e32 v64, 16, v11
	;; [unrolled: 1-line block ×3, first 2 shown]
	v_mul_u32_u24_e32 v72, 12, v72
	v_or_b32_e32 v52, v67, v52
	v_or_b32_e32 v48, v68, v48
	;; [unrolled: 1-line block ×5, first 2 shown]
	v_lshrrev_b32_e32 v66, 16, v0
	v_or_b32_e32 v41, v72, v41
	v_lshrrev_b32_e32 v73, 16, v1
	v_lshrrev_b32_e32 v74, 16, v2
	;; [unrolled: 1-line block ×5, first 2 shown]
	v_lshl_add_u32 v67, v67, 2, 0
	v_lshl_add_u32 v52, v52, 2, 0
	v_lshl_add_u32 v48, v48, 2, 0
	s_waitcnt vmcnt(0)
	s_barrier
	buffer_gl0_inv
	v_lshl_add_u32 v39, v39, 2, 0
	v_lshl_add_u32 v42, v42, 2, 0
	;; [unrolled: 1-line block ×3, first 2 shown]
	v_mul_f16_sdwa v80, v45, v58 dst_sel:DWORD dst_unused:UNUSED_PAD src0_sel:WORD_1 src1_sel:DWORD
	v_mul_f16_sdwa v68, v43, v20 dst_sel:DWORD dst_unused:UNUSED_PAD src0_sel:WORD_1 src1_sel:DWORD
	;; [unrolled: 1-line block ×7, first 2 shown]
	v_lshrrev_b32_e32 v85, 16, v49
	v_mul_f16_sdwa v88, v50, v60 dst_sel:DWORD dst_unused:UNUSED_PAD src0_sel:WORD_1 src1_sel:DWORD
	v_mul_f16_sdwa v89, v38, v61 dst_sel:DWORD dst_unused:UNUSED_PAD src0_sel:WORD_1 src1_sel:DWORD
	;; [unrolled: 1-line block ×3, first 2 shown]
	v_mul_f16_sdwa v78, v55, v36 dst_sel:DWORD dst_unused:UNUSED_PAD src0_sel:DWORD src1_sel:WORD_1
	v_mul_f16_sdwa v79, v45, v9 dst_sel:DWORD dst_unused:UNUSED_PAD src0_sel:WORD_1 src1_sel:DWORD
	v_mul_f16_sdwa v87, v50, v7 dst_sel:DWORD dst_unused:UNUSED_PAD src0_sel:WORD_1 src1_sel:DWORD
	v_lshrrev_b32_e32 v82, 16, v46
	v_mul_f16_sdwa v83, v47, v59 dst_sel:DWORD dst_unused:UNUSED_PAD src0_sel:WORD_1 src1_sel:DWORD
	v_mul_f16_sdwa v86, v47, v14 dst_sel:DWORD dst_unused:UNUSED_PAD src0_sel:WORD_1 src1_sel:DWORD
	v_mul_f16_sdwa v72, v15, v36 dst_sel:DWORD dst_unused:UNUSED_PAD src0_sel:DWORD src1_sel:WORD_1
	v_mul_f16_sdwa v91, v10, v37 dst_sel:DWORD dst_unused:UNUSED_PAD src0_sel:DWORD src1_sel:WORD_1
	;; [unrolled: 1-line block ×4, first 2 shown]
	v_fma_f16 v54, v51, v54, -v68
	v_mul_f16_sdwa v68, v63, v38 dst_sel:DWORD dst_unused:UNUSED_PAD src0_sel:DWORD src1_sel:WORD_1
	v_fmac_f16_e32 v69, v51, v20
	v_mul_f16_e32 v20, v64, v49
	v_mul_f16_e32 v49, v11, v49
	v_fmac_f16_e32 v70, v35, v21
	v_mul_f16_e32 v21, v65, v44
	v_mul_f16_e32 v44, v13, v44
	;; [unrolled: 1-line block ×4, first 2 shown]
	v_fma_f16 v35, v35, v56, -v71
	v_mul_f16_e32 v56, v34, v40
	v_mul_f16_e32 v40, v33, v40
	v_fmac_f16_e32 v80, v53, v9
	v_fmac_f16_e32 v81, v37, v8
	;; [unrolled: 1-line block ×4, first 2 shown]
	v_fma_f16 v7, v37, v57, -v84
	v_fma_f16 v9, v38, v61, -v90
	v_fmac_f16_e32 v78, v15, v36
	v_fma_f16 v15, v53, v58, -v79
	v_fma_f16 v8, v85, v60, -v87
	v_fmac_f16_e32 v83, v82, v14
	v_fma_f16 v6, v82, v59, -v86
	v_fma_f16 v55, v55, v36, -v72
	;; [unrolled: 1-line block ×4, first 2 shown]
	v_fmac_f16_e32 v93, v10, v37
	v_fmac_f16_e32 v68, v12, v38
	v_fmac_f16_e32 v20, v11, v45
	v_fma_f16 v10, v64, v45, -v49
	v_fmac_f16_e32 v21, v13, v50
	v_fma_f16 v11, v65, v50, -v44
	v_fmac_f16_e32 v51, v30, v43
	v_fma_f16 v12, v32, v43, -v46
	v_fmac_f16_e32 v56, v33, v47
	v_fma_f16 v13, v34, v47, -v40
	v_add_f16_e32 v32, v81, v89
	v_sub_f16_e32 v33, v7, v9
	v_add_f16_e32 v34, v66, v7
	v_add_f16_e32 v7, v7, v9
	;; [unrolled: 1-line block ×3, first 2 shown]
	v_sub_f16_e32 v43, v15, v8
	v_add_f16_e32 v44, v73, v15
	v_add_f16_e32 v15, v15, v8
	;; [unrolled: 1-line block ×5, first 2 shown]
	v_sub_f16_e32 v37, v81, v89
	v_add_f16_e32 v46, v2, v69
	v_sub_f16_e32 v49, v54, v6
	v_add_f16_e32 v50, v74, v54
	;; [unrolled: 2-line block ×3, first 2 shown]
	v_add_f16_e32 v59, v75, v35
	v_sub_f16_e32 v61, v35, v55
	v_add_f16_e32 v35, v35, v55
	v_add_f16_e32 v63, v93, v68
	;; [unrolled: 1-line block ×8, first 2 shown]
	v_fmac_f16_e32 v66, -0.5, v7
	v_fma_f16 v0, -0.5, v32, v0
	v_add_f16_e32 v38, v1, v80
	v_sub_f16_e32 v45, v80, v88
	v_fmac_f16_e32 v1, -0.5, v40
	v_fmac_f16_e32 v73, -0.5, v15
	;; [unrolled: 1-line block ×3, first 2 shown]
	v_fma_f16 v2, -0.5, v47, v2
	v_add_f16_e32 v57, v3, v70
	v_sub_f16_e32 v60, v70, v78
	v_add_f16_e32 v62, v4, v93
	v_sub_f16_e32 v64, v93, v68
	;; [unrolled: 2-line block ×6, first 2 shown]
	v_sub_f16_e32 v12, v12, v13
	v_add_f16_e32 v85, v30, v89
	v_add_f16_e32 v9, v34, v9
	v_fmac_f16_e32 v3, -0.5, v58
	v_fmac_f16_e32 v75, -0.5, v35
	;; [unrolled: 1-line block ×6, first 2 shown]
	v_add_f16_e32 v32, v82, v13
	v_fmac_f16_e32 v29, -0.5, v84
	v_fma_f16 v4, -0.5, v63, v4
	v_fmamk_f16 v13, v33, 0xbaee, v0
	v_fmac_f16_e32 v0, 0x3aee, v33
	v_fmamk_f16 v33, v37, 0x3aee, v66
	v_fmac_f16_e32 v66, 0xbaee, v37
	v_add_f16_e32 v7, v38, v88
	v_add_f16_e32 v8, v44, v8
	;; [unrolled: 1-line block ×4, first 2 shown]
	v_fmamk_f16 v37, v43, 0xbaee, v1
	v_fmac_f16_e32 v1, 0x3aee, v43
	v_fmamk_f16 v43, v45, 0x3aee, v73
	v_fmac_f16_e32 v73, 0xbaee, v45
	v_fmamk_f16 v45, v49, 0xbaee, v2
	v_fmamk_f16 v46, v54, 0x3aee, v74
	v_add_f16_e32 v34, v57, v78
	v_add_f16_e32 v38, v59, v55
	;; [unrolled: 1-line block ×7, first 2 shown]
	v_fmac_f16_e32 v2, 0x3aee, v49
	v_fmac_f16_e32 v74, 0xbaee, v54
	v_fmamk_f16 v47, v61, 0xbaee, v3
	v_fmac_f16_e32 v3, 0x3aee, v61
	v_fmamk_f16 v49, v60, 0x3aee, v75
	;; [unrolled: 2-line block ×8, first 2 shown]
	v_fmac_f16_e32 v29, 0xbaee, v51
	v_pack_b32_f16 v9, v85, v9
	v_pack_b32_f16 v13, v13, v33
	;; [unrolled: 1-line block ×18, first 2 shown]
	ds_write2_b32 v67, v9, v13 offset1:4
	ds_write_b32 v67, v0 offset:32
	ds_write2_b32 v52, v7, v15 offset1:4
	ds_write_b32 v52, v1 offset:32
	;; [unrolled: 2-line block ×6, first 2 shown]
	s_and_saveexec_b32 s1, s0
	s_cbranch_execz .LBB0_21
; %bb.20:
	v_lshrrev_b32_e32 v0, 2, v24
	v_perm_b32 v1, v32, v30, 0x5040100
	v_perm_b32 v2, v36, v35, 0x5040100
	;; [unrolled: 1-line block ×3, first 2 shown]
	v_mul_u32_u24_e32 v0, 12, v0
	v_or_b32_e32 v0, v0, v31
	v_lshl_add_u32 v0, v0, 2, 0
	ds_write2_b32 v0, v1, v2 offset1:4
	ds_write_b32 v0, v3 offset:32
.LBB0_21:
	s_or_b32 exec_lo, exec_lo, s1
	v_add_nc_u32_e32 v8, 0x800, v26
	v_add_nc_u32_e32 v2, 0x400, v26
	;; [unrolled: 1-line block ×6, first 2 shown]
	s_waitcnt lgkmcnt(0)
	s_barrier
	buffer_gl0_inv
	ds_read2_b32 v[0:1], v26 offset1:63
	ds_read2_b32 v[12:13], v2 offset0:164 offset1:227
	ds_read2_b32 v[6:7], v3 offset0:72 offset1:135
	;; [unrolled: 1-line block ×8, first 2 shown]
	s_and_saveexec_b32 s1, s0
	s_cbranch_execz .LBB0_23
; %bb.22:
	ds_read_b32 v30, v26 offset:1512
	ds_read_b32 v35, v26 offset:3192
	;; [unrolled: 1-line block ×3, first 2 shown]
	s_waitcnt lgkmcnt(2)
	v_lshrrev_b32_e32 v32, 16, v30
	s_waitcnt lgkmcnt(1)
	v_lshrrev_b32_e32 v36, 16, v35
	;; [unrolled: 2-line block ×3, first 2 shown]
.LBB0_23:
	s_or_b32 exec_lo, exec_lo, s1
	v_and_b32_e32 v33, 0xff, v16
	v_and_b32_e32 v31, 0xff, v22
	;; [unrolled: 1-line block ×3, first 2 shown]
	v_mov_b32_e32 v38, 0xaaab
	v_mov_b32_e32 v50, 3
	v_mul_lo_u16 v37, 0xab, v33
	v_mul_lo_u16 v39, 0xab, v31
	v_and_b32_e32 v33, 0xff, v23
	v_mul_u32_u24_sdwa v41, v27, v38 dst_sel:DWORD dst_unused:UNUSED_PAD src0_sel:WORD_0 src1_sel:DWORD
	v_mul_u32_u24_sdwa v42, v25, v38 dst_sel:DWORD dst_unused:UNUSED_PAD src0_sel:WORD_0 src1_sel:DWORD
	v_lshrrev_b16 v52, 11, v37
	v_mul_lo_u16 v37, 0xab, v34
	v_lshrrev_b16 v53, 11, v39
	v_mul_lo_u16 v40, 0xab, v33
	v_mul_u32_u24_sdwa v44, v24, v38 dst_sel:DWORD dst_unused:UNUSED_PAD src0_sel:WORD_0 src1_sel:DWORD
	v_mul_lo_u16 v39, v52, 12
	v_lshrrev_b16 v54, 11, v37
	v_mul_lo_u16 v37, v53, 12
	v_lshrrev_b16 v56, 11, v40
	v_lshrrev_b32_e32 v57, 19, v41
	v_sub_nc_u16 v55, v16, v39
	v_mul_lo_u16 v38, v54, 12
	v_sub_nc_u16 v58, v22, v37
	v_lshrrev_b32_e32 v59, 19, v42
	v_mul_lo_u16 v40, v56, 12
	v_lshlrev_b32_sdwa v37, v50, v55 dst_sel:DWORD dst_unused:UNUSED_PAD src0_sel:DWORD src1_sel:BYTE_0
	v_sub_nc_u16 v60, v17, v38
	v_lshlrev_b32_sdwa v41, v50, v58 dst_sel:DWORD dst_unused:UNUSED_PAD src0_sel:DWORD src1_sel:BYTE_0
	v_mul_lo_u16 v45, v59, 12
	v_sub_nc_u16 v61, v23, v40
	global_load_dwordx2 v[38:39], v37, s[8:9] offset:40
	v_mul_lo_u16 v37, v57, 12
	v_lshlrev_b32_sdwa v42, v50, v60 dst_sel:DWORD dst_unused:UNUSED_PAD src0_sel:DWORD src1_sel:BYTE_0
	v_sub_nc_u16 v62, v25, v45
	v_lshlrev_b32_sdwa v46, v50, v61 dst_sel:DWORD dst_unused:UNUSED_PAD src0_sel:DWORD src1_sel:BYTE_0
	global_load_dwordx2 v[40:41], v41, s[8:9] offset:40
	v_sub_nc_u16 v27, v27, v37
	v_lshrrev_b32_e32 v37, 19, v44
	s_clause 0x1
	global_load_dwordx2 v[42:43], v42, s[8:9] offset:40
	global_load_dwordx2 v[44:45], v46, s[8:9] offset:40
	v_mov_b32_e32 v74, 0x90
	v_lshlrev_b32_sdwa v25, v50, v27 dst_sel:DWORD dst_unused:UNUSED_PAD src0_sel:DWORD src1_sel:WORD_0
	v_mul_lo_u16 v48, v37, 12
	s_waitcnt lgkmcnt(7)
	v_lshrrev_b32_e32 v75, 16, v12
	s_waitcnt lgkmcnt(6)
	v_lshrrev_b32_e32 v76, 16, v6
	v_lshrrev_b32_e32 v77, 16, v13
	global_load_dwordx2 v[46:47], v25, s[8:9] offset:40
	v_lshlrev_b32_sdwa v25, v50, v62 dst_sel:DWORD dst_unused:UNUSED_PAD src0_sel:DWORD src1_sel:WORD_0
	v_sub_nc_u16 v24, v24, v48
	v_lshrrev_b32_e32 v78, 16, v7
	s_waitcnt lgkmcnt(4)
	v_lshrrev_b32_e32 v79, 16, v14
	v_mul_u32_u24_sdwa v52, v52, v74 dst_sel:DWORD dst_unused:UNUSED_PAD src0_sel:WORD_0 src1_sel:DWORD
	global_load_dwordx2 v[48:49], v25, s[8:9] offset:40
	v_lshlrev_b32_sdwa v25, v50, v24 dst_sel:DWORD dst_unused:UNUSED_PAD src0_sel:DWORD src1_sel:WORD_0
	v_mul_u32_u24_sdwa v53, v53, v74 dst_sel:DWORD dst_unused:UNUSED_PAD src0_sel:WORD_0 src1_sel:DWORD
	v_mul_u32_u24_sdwa v54, v54, v74 dst_sel:DWORD dst_unused:UNUSED_PAD src0_sel:WORD_0 src1_sel:DWORD
	;; [unrolled: 1-line block ×3, first 2 shown]
	v_mul_u32_u24_e32 v57, 0x90, v57
	global_load_dwordx2 v[50:51], v25, s[8:9] offset:40
	v_mov_b32_e32 v25, 2
	v_mul_u32_u24_e32 v59, 0x90, v59
	s_waitcnt lgkmcnt(3)
	v_lshrrev_b32_e32 v80, 16, v20
	v_lshrrev_b32_e32 v67, 16, v21
	s_waitcnt lgkmcnt(1)
	v_lshrrev_b32_e32 v69, 16, v10
	v_lshlrev_b32_sdwa v55, v25, v55 dst_sel:DWORD dst_unused:UNUSED_PAD src0_sel:DWORD src1_sel:BYTE_0
	v_lshlrev_b32_sdwa v58, v25, v58 dst_sel:DWORD dst_unused:UNUSED_PAD src0_sel:DWORD src1_sel:BYTE_0
	;; [unrolled: 1-line block ×4, first 2 shown]
	v_lshlrev_b32_sdwa v27, v25, v27 dst_sel:DWORD dst_unused:UNUSED_PAD src0_sel:DWORD src1_sel:WORD_0
	v_lshlrev_b32_sdwa v62, v25, v62 dst_sel:DWORD dst_unused:UNUSED_PAD src0_sel:DWORD src1_sel:WORD_0
	s_waitcnt lgkmcnt(0)
	v_lshrrev_b32_e32 v70, 16, v8
	v_lshrrev_b32_e32 v72, 16, v11
	;; [unrolled: 1-line block ×4, first 2 shown]
	v_add3_u32 v52, 0, v52, v55
	v_add3_u32 v53, 0, v53, v58
	;; [unrolled: 1-line block ×6, first 2 shown]
	v_lshrrev_b32_e32 v63, 16, v0
	v_lshrrev_b32_e32 v64, 16, v1
	;; [unrolled: 1-line block ×6, first 2 shown]
	s_waitcnt vmcnt(0)
	s_barrier
	buffer_gl0_inv
	v_mul_f16_sdwa v27, v38, v12 dst_sel:DWORD dst_unused:UNUSED_PAD src0_sel:WORD_1 src1_sel:DWORD
	v_mul_f16_sdwa v58, v39, v6 dst_sel:DWORD dst_unused:UNUSED_PAD src0_sel:WORD_1 src1_sel:DWORD
	;; [unrolled: 1-line block ×14, first 2 shown]
	v_mul_f16_sdwa v89, v67, v45 dst_sel:DWORD dst_unused:UNUSED_PAD src0_sel:DWORD src1_sel:WORD_1
	v_mul_f16_sdwa v90, v21, v45 dst_sel:DWORD dst_unused:UNUSED_PAD src0_sel:DWORD src1_sel:WORD_1
	;; [unrolled: 1-line block ×5, first 2 shown]
	v_fma_f16 v27, v38, v75, -v27
	v_mul_f16_sdwa v75, v8, v47 dst_sel:DWORD dst_unused:UNUSED_PAD src0_sel:DWORD src1_sel:WORD_1
	v_fma_f16 v58, v39, v76, -v58
	v_mul_f16_sdwa v76, v72, v48 dst_sel:DWORD dst_unused:UNUSED_PAD src0_sel:DWORD src1_sel:WORD_1
	v_fmac_f16_e32 v59, v38, v12
	v_fmac_f16_e32 v60, v39, v6
	v_mul_f16_sdwa v38, v11, v48 dst_sel:DWORD dst_unused:UNUSED_PAD src0_sel:DWORD src1_sel:WORD_1
	v_mul_f16_sdwa v39, v73, v49 dst_sel:DWORD dst_unused:UNUSED_PAD src0_sel:DWORD src1_sel:WORD_1
	v_fmac_f16_e32 v61, v40, v13
	v_mul_f16_sdwa v13, v9, v49 dst_sel:DWORD dst_unused:UNUSED_PAD src0_sel:DWORD src1_sel:WORD_1
	v_mul_f16_sdwa v12, v36, v50 dst_sel:DWORD dst_unused:UNUSED_PAD src0_sel:DWORD src1_sel:WORD_1
	;; [unrolled: 3-line block ×3, first 2 shown]
	v_fma_f16 v40, v40, v77, -v74
	v_mul_f16_sdwa v74, v28, v51 dst_sel:DWORD dst_unused:UNUSED_PAD src0_sel:DWORD src1_sel:WORD_1
	v_fma_f16 v41, v41, v78, -v82
	v_fmac_f16_e32 v83, v42, v14
	v_fma_f16 v77, v42, v79, -v84
	v_fma_f16 v78, v43, v80, -v86
	v_fmac_f16_e32 v85, v43, v20
	v_fmac_f16_e32 v87, v44, v15
	;; [unrolled: 1-line block ×3, first 2 shown]
	v_fma_f16 v14, v44, v81, -v88
	v_fma_f16 v15, v67, v45, -v90
	;; [unrolled: 1-line block ×3, first 2 shown]
	v_fmac_f16_e32 v91, v10, v46
	v_fmac_f16_e32 v93, v8, v47
	v_fma_f16 v21, v70, v47, -v75
	v_fmac_f16_e32 v76, v11, v48
	v_fma_f16 v10, v72, v48, -v38
	;; [unrolled: 2-line block ×5, first 2 shown]
	v_add_f16_e32 v28, v59, v60
	v_sub_f16_e32 v29, v27, v58
	v_add_f16_e32 v35, v63, v27
	v_add_f16_e32 v27, v27, v58
	v_sub_f16_e32 v43, v40, v41
	v_add_f16_e32 v44, v64, v40
	v_add_f16_e32 v40, v40, v41
	;; [unrolled: 1-line block ×7, first 2 shown]
	v_sub_f16_e32 v36, v59, v60
	v_add_f16_e32 v38, v1, v61
	v_sub_f16_e32 v45, v61, v62
	v_sub_f16_e32 v51, v83, v85
	v_add_f16_e32 v61, v87, v89
	v_sub_f16_e32 v67, v14, v15
	v_add_f16_e32 v69, v66, v14
	v_add_f16_e32 v14, v14, v15
	;; [unrolled: 1-line block ×3, first 2 shown]
	v_sub_f16_e32 v74, v20, v21
	v_add_f16_e32 v75, v68, v20
	v_add_f16_e32 v20, v20, v21
	;; [unrolled: 1-line block ×8, first 2 shown]
	v_fmac_f16_e32 v63, -0.5, v27
	v_fmac_f16_e32 v64, -0.5, v40
	v_add_f16_e32 v40, v46, v85
	v_fma_f16 v46, -0.5, v28, v0
	v_add_f16_e32 v72, v4, v91
	v_fmac_f16_e32 v1, -0.5, v42
	v_sub_f16_e32 v48, v77, v78
	v_add_f16_e32 v49, v65, v77
	v_fmac_f16_e32 v65, -0.5, v50
	v_fma_f16 v47, -0.5, v47, v2
	v_add_f16_e32 v59, v3, v87
	v_sub_f16_e32 v70, v87, v89
	v_sub_f16_e32 v77, v91, v93
	;; [unrolled: 1-line block ×6, first 2 shown]
	v_add_f16_e32 v13, v13, v60
	v_add_f16_e32 v35, v35, v58
	v_fmac_f16_e32 v3, -0.5, v61
	v_fmac_f16_e32 v66, -0.5, v14
	v_fma_f16 v4, -0.5, v73, v4
	v_fmac_f16_e32 v68, -0.5, v20
	v_add_f16_e32 v20, v79, v39
	v_fmac_f16_e32 v5, -0.5, v80
	v_add_f16_e32 v11, v82, v11
	v_fmac_f16_e32 v71, -0.5, v83
	v_fma_f16 v0, -0.5, v84, v30
	v_fma_f16 v2, -0.5, v86, v32
	v_fmamk_f16 v39, v29, 0xbaee, v46
	v_fmac_f16_e32 v46, 0x3aee, v29
	v_fmamk_f16 v29, v36, 0x3aee, v63
	v_add_f16_e32 v14, v72, v93
	v_add_f16_e32 v21, v75, v21
	v_fmac_f16_e32 v63, 0xbaee, v36
	v_add_f16_e32 v38, v38, v62
	v_add_f16_e32 v41, v44, v41
	v_fmamk_f16 v36, v43, 0xbaee, v1
	v_fmac_f16_e32 v1, 0x3aee, v43
	v_fmamk_f16 v43, v45, 0x3aee, v64
	v_fmac_f16_e32 v64, 0xbaee, v45
	v_add_f16_e32 v42, v49, v78
	v_fmamk_f16 v45, v48, 0xbaee, v47
	v_fmac_f16_e32 v47, 0x3aee, v48
	v_fmamk_f16 v48, v51, 0x3aee, v65
	v_add_f16_e32 v44, v59, v89
	v_add_f16_e32 v15, v69, v15
	v_fmac_f16_e32 v65, 0xbaee, v51
	v_fmamk_f16 v49, v67, 0xbaee, v3
	v_fmac_f16_e32 v3, 0x3aee, v67
	v_fmamk_f16 v50, v70, 0x3aee, v66
	;; [unrolled: 2-line block ×7, first 2 shown]
	v_fmamk_f16 v28, v10, 0xbaee, v2
	v_pack_b32_f16 v13, v13, v35
	v_pack_b32_f16 v11, v20, v11
	;; [unrolled: 1-line block ×18, first 2 shown]
	ds_write2_b32 v52, v13, v20 offset1:12
	ds_write_b32 v52, v21 offset:96
	ds_write2_b32 v53, v35, v29 offset1:12
	ds_write_b32 v53, v1 offset:96
	;; [unrolled: 2-line block ×6, first 2 shown]
	s_and_saveexec_b32 s1, s0
	s_cbranch_execz .LBB0_25
; %bb.24:
	v_mul_f16_e32 v1, 0x3aee, v10
	v_add_f16_e32 v3, v32, v8
	v_mul_f16_e32 v4, 0x3aee, v9
	v_mul_lo_u16 v5, v37, 36
	v_add_f16_e32 v8, v30, v12
	v_add_f16_e32 v1, v1, v2
	;; [unrolled: 1-line block ×3, first 2 shown]
	v_lshlrev_b32_sdwa v3, v25, v24 dst_sel:DWORD dst_unused:UNUSED_PAD src0_sel:DWORD src1_sel:WORD_0
	v_lshlrev_b32_sdwa v5, v25, v5 dst_sel:DWORD dst_unused:UNUSED_PAD src0_sel:DWORD src1_sel:WORD_0
	v_add_f16_e32 v6, v8, v6
	v_sub_f16_e32 v0, v0, v4
	v_add3_u32 v3, 0, v3, v5
	v_pack_b32_f16 v2, v6, v2
	v_pack_b32_f16 v0, v0, v1
	v_perm_b32 v1, v28, v27, 0x5040100
	ds_write2_b32 v3, v2, v0 offset1:12
	ds_write_b32 v3, v1 offset:96
.LBB0_25:
	s_or_b32 exec_lo, exec_lo, s1
	v_mul_lo_u16 v0, v34, 57
	v_cmp_gt_u32_e64 s0, 36, v16
	v_mov_b32_e32 v35, 0
	s_waitcnt lgkmcnt(0)
	s_barrier
	v_lshrrev_b16 v40, 11, v0
	v_mul_lo_u16 v0, v33, 57
	buffer_gl0_inv
	v_add_nc_u32_e32 v37, 0x600, v26
	v_add_nc_u32_e32 v29, 0xa00, v26
	v_mul_lo_u16 v1, v40, 36
	v_lshrrev_b16 v24, 11, v0
	v_mov_b32_e32 v0, 4
	v_add_nc_u32_e32 v45, 0xe00, v26
	v_add_nc_u32_e32 v32, 0x400, v26
	v_sub_nc_u16 v42, v17, v1
	v_mul_lo_u16 v1, v31, 57
	v_mul_lo_u16 v2, v24, 36
	ds_read2_b32 v[20:21], v26 offset0:126 offset1:189
	v_add_nc_u32_e32 v33, 0x800, v26
	v_lshlrev_b32_sdwa v3, v0, v42 dst_sel:DWORD dst_unused:UNUSED_PAD src0_sel:DWORD src1_sel:BYTE_0
	v_lshrrev_b16 v41, 11, v1
	v_sub_nc_u16 v55, v23, v2
	v_subrev_nc_u32_e32 v1, 36, v16
	v_add_nc_u32_e32 v30, 0xc00, v26
	global_load_dwordx4 v[12:15], v3, s[8:9] offset:136
	v_mul_lo_u16 v2, v41, 36
	v_add_nc_u32_e32 v31, 0x1000, v26
	v_cndmask_b32_e64 v1, v1, v16, s0
	v_mov_b32_e32 v39, 0x2d0
	v_sub_nc_u16 v56, v22, v2
	ds_read2_b32 v[22:23], v26 offset1:63
	v_lshlrev_b32_e32 v34, 2, v1
	v_mul_u32_u24_sdwa v58, v41, v39 dst_sel:DWORD dst_unused:UNUSED_PAD src0_sel:WORD_0 src1_sel:DWORD
	v_mul_u32_u24_sdwa v59, v40, v39 dst_sel:DWORD dst_unused:UNUSED_PAD src0_sel:WORD_0 src1_sel:DWORD
	v_lshlrev_b32_sdwa v2, v0, v56 dst_sel:DWORD dst_unused:UNUSED_PAD src0_sel:DWORD src1_sel:BYTE_0
	v_lshlrev_b32_sdwa v56, v25, v56 dst_sel:DWORD dst_unused:UNUSED_PAD src0_sel:DWORD src1_sel:BYTE_0
	s_waitcnt lgkmcnt(1)
	v_lshrrev_b32_e32 v40, 16, v20
	global_load_dwordx4 v[4:7], v2, s[8:9] offset:136
	v_lshlrev_b32_sdwa v3, v0, v55 dst_sel:DWORD dst_unused:UNUSED_PAD src0_sel:DWORD src1_sel:BYTE_0
	v_lshlrev_b64 v[0:1], 2, v[34:35]
	v_add_nc_u32_e32 v35, 0x200, v26
	v_add3_u32 v56, 0, v58, v56
	global_load_dwordx4 v[8:11], v3, s[8:9] offset:136
	v_add_co_u32 v0, s0, s8, v0
	v_add_co_ci_u32_e64 v1, s0, s9, v1, s0
	v_cmp_lt_u32_e64 s0, 35, v16
	global_load_dwordx4 v[0:3], v[0:1], off offset:136
	ds_read2_b32 v[35:36], v35 offset0:124 offset1:187
	ds_read2_b32 v[37:38], v37 offset0:120 offset1:183
	;; [unrolled: 1-line block ×8, first 2 shown]
	v_cndmask_b32_e64 v57, 0, 0x2d0, s0
	s_waitcnt vmcnt(0) lgkmcnt(0)
	s_barrier
	buffer_gl0_inv
	v_cmp_gt_u32_e64 s0, 54, v16
	v_add3_u32 v41, 0, v57, v34
	v_lshlrev_b32_sdwa v57, v25, v42 dst_sel:DWORD dst_unused:UNUSED_PAD src0_sel:DWORD src1_sel:BYTE_0
	v_lshrrev_b32_e32 v34, 16, v21
	v_lshrrev_b32_e32 v42, 16, v23
	v_lshlrev_b32_sdwa v25, v25, v55 dst_sel:DWORD dst_unused:UNUSED_PAD src0_sel:DWORD src1_sel:BYTE_0
	v_lshrrev_b32_e32 v55, 16, v22
	v_add3_u32 v57, 0, v59, v57
	v_lshrrev_b32_e32 v60, 16, v36
	v_lshrrev_b32_e32 v61, 16, v38
	;; [unrolled: 1-line block ×16, first 2 shown]
	v_mul_f16_sdwa v76, v49, v13 dst_sel:DWORD dst_unused:UNUSED_PAD src0_sel:DWORD src1_sel:WORD_1
	v_mul_f16_sdwa v74, v47, v12 dst_sel:DWORD dst_unused:UNUSED_PAD src0_sel:DWORD src1_sel:WORD_1
	;; [unrolled: 1-line block ×8, first 2 shown]
	v_fma_f16 v65, v65, v13, -v76
	v_fma_f16 v64, v64, v12, -v74
	;; [unrolled: 1-line block ×4, first 2 shown]
	v_fmac_f16_e32 v75, v47, v12
	v_fmac_f16_e32 v77, v49, v13
	;; [unrolled: 1-line block ×4, first 2 shown]
	v_mul_f16_sdwa v90, v60, v4 dst_sel:DWORD dst_unused:UNUSED_PAD src0_sel:DWORD src1_sel:WORD_1
	v_mul_f16_sdwa v92, v61, v5 dst_sel:DWORD dst_unused:UNUSED_PAD src0_sel:DWORD src1_sel:WORD_1
	v_mul_f16_sdwa v94, v62, v6 dst_sel:DWORD dst_unused:UNUSED_PAD src0_sel:DWORD src1_sel:WORD_1
	v_mul_f16_sdwa v76, v63, v7 dst_sel:DWORD dst_unused:UNUSED_PAD src0_sel:DWORD src1_sel:WORD_1
	v_mul_f16_sdwa v91, v36, v4 dst_sel:DWORD dst_unused:UNUSED_PAD src0_sel:DWORD src1_sel:WORD_1
	v_mul_f16_sdwa v93, v38, v5 dst_sel:DWORD dst_unused:UNUSED_PAD src0_sel:DWORD src1_sel:WORD_1
	v_mul_f16_sdwa v82, v68, v8 dst_sel:DWORD dst_unused:UNUSED_PAD src0_sel:DWORD src1_sel:WORD_1
	v_mul_f16_sdwa v83, v69, v9 dst_sel:DWORD dst_unused:UNUSED_PAD src0_sel:DWORD src1_sel:WORD_1
	v_mul_f16_sdwa v84, v48, v8 dst_sel:DWORD dst_unused:UNUSED_PAD src0_sel:DWORD src1_sel:WORD_1
	v_mul_f16_sdwa v85, v70, v10 dst_sel:DWORD dst_unused:UNUSED_PAD src0_sel:DWORD src1_sel:WORD_1
	v_mul_f16_sdwa v86, v50, v9 dst_sel:DWORD dst_unused:UNUSED_PAD src0_sel:DWORD src1_sel:WORD_1
	v_mul_f16_sdwa v87, v71, v11 dst_sel:DWORD dst_unused:UNUSED_PAD src0_sel:DWORD src1_sel:WORD_1
	v_mul_f16_sdwa v88, v52, v10 dst_sel:DWORD dst_unused:UNUSED_PAD src0_sel:DWORD src1_sel:WORD_1
	v_mul_f16_sdwa v89, v54, v11 dst_sel:DWORD dst_unused:UNUSED_PAD src0_sel:DWORD src1_sel:WORD_1
	v_mul_f16_sdwa v74, v44, v6 dst_sel:DWORD dst_unused:UNUSED_PAD src0_sel:DWORD src1_sel:WORD_1
	v_mul_f16_sdwa v78, v46, v7 dst_sel:DWORD dst_unused:UNUSED_PAD src0_sel:DWORD src1_sel:WORD_1
	v_mul_f16_sdwa v12, v0, v35 dst_sel:DWORD dst_unused:UNUSED_PAD src0_sel:WORD_1 src1_sel:DWORD
	v_mul_f16_sdwa v13, v1, v58 dst_sel:DWORD dst_unused:UNUSED_PAD src0_sel:WORD_1 src1_sel:DWORD
	;; [unrolled: 1-line block ×5, first 2 shown]
	v_fmac_f16_e32 v82, v48, v8
	v_mul_f16_sdwa v48, v3, v73 dst_sel:DWORD dst_unused:UNUSED_PAD src0_sel:WORD_1 src1_sel:DWORD
	v_fmac_f16_e32 v83, v50, v9
	v_mul_f16_sdwa v49, v3, v45 dst_sel:DWORD dst_unused:UNUSED_PAD src0_sel:WORD_1 src1_sel:DWORD
	v_fmac_f16_e32 v85, v52, v10
	v_fmac_f16_e32 v87, v54, v11
	v_fma_f16 v8, v68, v8, -v84
	v_fma_f16 v9, v69, v9, -v86
	;; [unrolled: 1-line block ×4, first 2 shown]
	v_fmac_f16_e32 v90, v36, v4
	v_fmac_f16_e32 v92, v38, v5
	;; [unrolled: 1-line block ×4, first 2 shown]
	v_mul_f16_sdwa v47, v2, v43 dst_sel:DWORD dst_unused:UNUSED_PAD src0_sel:WORD_1 src1_sel:DWORD
	v_fma_f16 v50, v60, v4, -v91
	v_fma_f16 v51, v61, v5, -v93
	;; [unrolled: 1-line block ×5, first 2 shown]
	v_fmac_f16_e32 v13, v1, v37
	v_sub_f16_e32 v7, v77, v75
	v_sub_f16_e32 v12, v80, v81
	v_sub_f16_e32 v37, v64, v65
	v_sub_f16_e32 v38, v67, v66
	v_fma_f16 v5, v1, v58, -v14
	v_fmac_f16_e32 v79, v0, v35
	v_fmac_f16_e32 v15, v2, v43
	;; [unrolled: 1-line block ×3, first 2 shown]
	v_fma_f16 v6, v3, v73, -v49
	v_sub_f16_e32 v1, v75, v77
	v_sub_f16_e32 v3, v81, v80
	v_add_f16_e32 v35, v21, v82
	v_add_f16_e32 v36, v65, v66
	v_sub_f16_e32 v45, v82, v83
	v_sub_f16_e32 v46, v87, v85
	;; [unrolled: 1-line block ×4, first 2 shown]
	v_add_f16_e32 v62, v9, v10
	v_sub_f16_e32 v63, v8, v9
	v_sub_f16_e32 v68, v11, v10
	;; [unrolled: 1-line block ×6, first 2 shown]
	v_add_f16_e32 v78, v92, v94
	v_sub_f16_e32 v86, v92, v90
	v_sub_f16_e32 v88, v94, v76
	v_fma_f16 v0, v2, v59, -v47
	v_add_f16_e32 v47, v82, v87
	v_sub_f16_e32 v59, v82, v87
	v_add_f16_e32 v82, v90, v76
	v_sub_f16_e32 v89, v50, v51
	v_sub_f16_e32 v91, v53, v52
	v_add_f16_e32 v7, v7, v12
	v_sub_f16_e32 v12, v51, v50
	v_add_f16_e32 v97, v37, v38
	;; [unrolled: 2-line block ×3, first 2 shown]
	v_add_f16_e32 v14, v40, v64
	v_add_f16_e32 v43, v64, v67
	;; [unrolled: 1-line block ×3, first 2 shown]
	v_sub_f16_e32 v54, v83, v85
	v_sub_f16_e32 v60, v65, v64
	;; [unrolled: 1-line block ×3, first 2 shown]
	v_add_f16_e32 v69, v8, v11
	v_add_f16_e32 v83, v35, v83
	;; [unrolled: 1-line block ×4, first 2 shown]
	v_fma_f16 v35, -0.5, v36, v40
	v_add_f16_e32 v38, v20, v75
	v_add_f16_e32 v45, v45, v46
	v_add_f16_e32 v46, v49, v58
	v_add_f16_e32 v49, v63, v68
	v_fma_f16 v36, -0.5, v62, v34
	v_add_f16_e32 v62, v70, v71
	v_add_f16_e32 v63, v75, v81
	v_sub_f16_e32 v68, v75, v81
	v_add_f16_e32 v70, v73, v74
	v_sub_f16_e32 v71, v79, v13
	v_fma_f16 v73, -0.5, v78, v23
	v_sub_f16_e32 v74, v48, v15
	v_add_f16_e32 v75, v86, v88
	v_sub_f16_e32 v78, v13, v79
	v_sub_f16_e32 v86, v15, v48
	v_add_f16_e32 v84, v23, v90
	v_fmac_f16_e32 v23, -0.5, v82
	v_add_f16_e32 v82, v89, v91
	v_sub_f16_e32 v89, v4, v5
	v_add_f16_e32 v12, v12, v37
	v_sub_f16_e32 v37, v6, v0
	v_add_f16_e32 v72, v34, v8
	v_add_f16_e32 v93, v51, v52
	v_fmac_f16_e32 v40, -0.5, v43
	v_add_f16_e32 v43, v60, v61
	v_sub_f16_e32 v60, v77, v80
	v_fmac_f16_e32 v34, -0.5, v69
	v_sub_f16_e32 v61, v51, v52
	v_sub_f16_e32 v64, v64, v67
	v_sub_f16_e32 v69, v90, v76
	v_add_f16_e32 v38, v38, v77
	v_add_f16_e32 v77, v5, v0
	;; [unrolled: 1-line block ×3, first 2 shown]
	v_sub_f16_e32 v90, v5, v4
	v_add_f16_e32 v3, v3, v51
	v_sub_f16_e32 v51, v0, v6
	v_add_f16_e32 v71, v71, v74
	v_add_f16_e32 v74, v22, v79
	v_add_f16_e32 v78, v78, v86
	v_add_f16_e32 v86, v13, v15
	v_fma_f16 v2, -0.5, v2, v20
	v_fma_f16 v1, -0.5, v44, v21
	v_sub_f16_e32 v44, v65, v66
	v_add_f16_e32 v65, v4, v6
	v_add_f16_e32 v89, v89, v37
	;; [unrolled: 1-line block ×3, first 2 shown]
	v_fma_f16 v63, -0.5, v63, v20
	v_fmac_f16_e32 v21, -0.5, v47
	v_sub_f16_e32 v47, v9, v10
	v_add_f16_e32 v9, v72, v9
	v_add_f16_e32 v72, v55, v4
	;; [unrolled: 1-line block ×3, first 2 shown]
	v_sub_f16_e32 v91, v13, v15
	v_fma_f16 v77, -0.5, v77, v55
	v_add_f16_e32 v51, v90, v51
	v_sub_f16_e32 v79, v79, v48
	v_sub_f16_e32 v90, v4, v6
	v_add_f16_e32 v13, v74, v13
	v_fma_f16 v74, -0.5, v86, v22
	v_add_f16_e32 v14, v14, v66
	v_fmamk_f16 v66, v64, 0xbb9c, v2
	v_fmac_f16_e32 v2, 0x3b9c, v64
	v_add_f16_e32 v84, v84, v92
	v_fmac_f16_e32 v55, -0.5, v65
	v_sub_f16_e32 v65, v5, v0
	v_fma_f16 v22, -0.5, v37, v22
	v_add_f16_e32 v37, v83, v85
	v_add_f16_e32 v38, v38, v80
	v_fmamk_f16 v80, v44, 0x3b9c, v63
	v_fmac_f16_e32 v63, 0xbb9c, v44
	v_fmamk_f16 v83, v68, 0x3b9c, v35
	v_fmac_f16_e32 v35, 0xbb9c, v68
	v_sub_f16_e32 v50, v50, v53
	v_fma_f16 v88, -0.5, v93, v42
	v_add_f16_e32 v72, v72, v5
	v_sub_f16_e32 v58, v92, v94
	v_fmac_f16_e32 v42, -0.5, v95
	v_fmac_f16_e32 v66, 0xb8b4, v44
	v_fmac_f16_e32 v2, 0x38b4, v44
	v_fmamk_f16 v44, v90, 0xbb9c, v74
	v_add_f16_e32 v14, v14, v67
	v_fmamk_f16 v67, v79, 0x3b9c, v77
	v_add_f16_e32 v9, v9, v10
	v_add_f16_e32 v10, v84, v94
	v_fmamk_f16 v84, v60, 0xbb9c, v40
	v_fmac_f16_e32 v40, 0x3b9c, v60
	v_fmac_f16_e32 v80, 0xb8b4, v64
	v_fmac_f16_e32 v63, 0x38b4, v64
	v_fmamk_f16 v64, v65, 0x3b9c, v22
	v_fmac_f16_e32 v22, 0xbb9c, v65
	v_fmac_f16_e32 v83, 0x38b4, v60
	v_fmac_f16_e32 v35, 0xb8b4, v60
	;; [unrolled: 4-line block ×3, first 2 shown]
	v_fmamk_f16 v85, v50, 0xbb9c, v73
	v_add_f16_e32 v0, v72, v0
	v_fmamk_f16 v72, v69, 0x3b9c, v88
	v_add_f16_e32 v13, v13, v15
	v_fmamk_f16 v15, v61, 0x3b9c, v23
	v_fmac_f16_e32 v23, 0xbb9c, v61
	v_fmamk_f16 v86, v58, 0xbb9c, v42
	v_fmac_f16_e32 v42, 0x3b9c, v58
	v_sub_f16_e32 v8, v8, v11
	v_fmamk_f16 v5, v47, 0x3b9c, v21
	v_fmac_f16_e32 v21, 0xbb9c, v47
	v_fmac_f16_e32 v73, 0x3b9c, v50
	;; [unrolled: 1-line block ×11, first 2 shown]
	v_add_f16_e32 v52, v3, v52
	v_fmac_f16_e32 v85, 0xb8b4, v61
	v_fmac_f16_e32 v72, 0x38b4, v58
	;; [unrolled: 1-line block ×6, first 2 shown]
	v_fmamk_f16 v4, v8, 0xbb9c, v1
	v_fmac_f16_e32 v1, 0x3b9c, v8
	v_fmamk_f16 v20, v59, 0x3b9c, v36
	v_fmac_f16_e32 v5, 0xb8b4, v8
	v_fmac_f16_e32 v21, 0x38b4, v8
	v_add_f16_e32 v8, v10, v76
	v_fmac_f16_e32 v73, 0x38b4, v61
	v_fmac_f16_e32 v88, 0xb8b4, v58
	v_add_f16_e32 v10, v13, v48
	v_add_f16_e32 v0, v0, v6
	v_fmac_f16_e32 v44, 0x34f2, v71
	v_fmac_f16_e32 v67, 0x34f2, v89
	v_add_f16_e32 v3, v37, v87
	v_fmamk_f16 v37, v54, 0xbb9c, v34
	v_fmac_f16_e32 v34, 0x3b9c, v54
	v_fmac_f16_e32 v64, 0x34f2, v78
	;; [unrolled: 1-line block ×6, first 2 shown]
	v_add_f16_e32 v81, v38, v81
	v_fmac_f16_e32 v74, 0x34f2, v71
	v_fmac_f16_e32 v77, 0x34f2, v89
	;; [unrolled: 1-line block ×4, first 2 shown]
	v_add_f16_e32 v38, v9, v11
	v_add_f16_e32 v9, v52, v53
	v_fmac_f16_e32 v66, 0x34f2, v96
	v_fmac_f16_e32 v83, 0x34f2, v97
	;; [unrolled: 1-line block ×12, first 2 shown]
	v_pack_b32_f16 v0, v10, v0
	v_pack_b32_f16 v11, v44, v67
	v_fmac_f16_e32 v37, 0x38b4, v59
	v_fmac_f16_e32 v34, 0xb8b4, v59
	v_pack_b32_f16 v12, v64, v60
	v_pack_b32_f16 v13, v22, v55
	v_fmac_f16_e32 v1, 0x38b4, v47
	v_fmac_f16_e32 v36, 0xb8b4, v54
	;; [unrolled: 4-line block ×3, first 2 shown]
	v_fmac_f16_e32 v84, 0x34f2, v43
	v_fmac_f16_e32 v40, 0x34f2, v43
	v_pack_b32_f16 v7, v8, v9
	v_pack_b32_f16 v8, v85, v72
	;; [unrolled: 1-line block ×3, first 2 shown]
	v_fmac_f16_e32 v2, 0x34f2, v96
	v_fmac_f16_e32 v35, 0x34f2, v97
	v_pack_b32_f16 v9, v15, v86
	v_pack_b32_f16 v10, v23, v42
	v_fmac_f16_e32 v4, 0x34f2, v45
	v_fmac_f16_e32 v20, 0x34f2, v49
	v_pack_b32_f16 v15, v73, v88
	ds_write2_b32 v41, v0, v11 offset1:36
	ds_write2_b32 v41, v12, v13 offset0:72 offset1:108
	ds_write_b32 v41, v14 offset:576
	ds_write2_b32 v56, v7, v8 offset1:36
	ds_write2_b32 v56, v9, v10 offset0:72 offset1:108
	ds_write_b32 v56, v15 offset:576
	v_mul_u32_u24_sdwa v0, v24, v39 dst_sel:DWORD dst_unused:UNUSED_PAD src0_sel:WORD_0 src1_sel:DWORD
	v_fmac_f16_e32 v5, 0x34f2, v46
	v_fmac_f16_e32 v21, 0x34f2, v46
	;; [unrolled: 1-line block ×6, first 2 shown]
	ds_write2_b32 v57, v6, v22 offset1:36
	v_pack_b32_f16 v6, v80, v84
	v_pack_b32_f16 v7, v63, v40
	;; [unrolled: 1-line block ×3, first 2 shown]
	v_add3_u32 v0, 0, v0, v25
	v_pack_b32_f16 v9, v3, v38
	v_pack_b32_f16 v10, v4, v20
	;; [unrolled: 1-line block ×5, first 2 shown]
	ds_write2_b32 v57, v6, v7 offset0:72 offset1:108
	ds_write_b32 v57, v8 offset:576
	ds_write2_b32 v0, v9, v10 offset1:36
	ds_write2_b32 v0, v11, v12 offset0:72 offset1:108
	ds_write_b32 v0, v13 offset:576
	s_waitcnt lgkmcnt(0)
	s_barrier
	buffer_gl0_inv
	ds_read2_b32 v[6:7], v26 offset1:63
	ds_read2_b32 v[8:9], v26 offset0:180 offset1:243
	ds_read2_b32 v[10:11], v32 offset0:104 offset1:167
	ds_read2_b32 v[12:13], v33 offset0:28 offset1:91
	ds_read2_b32 v[14:15], v29 offset0:80 offset1:143
	ds_read2_b32 v[22:23], v30 offset0:132 offset1:195
	ds_read2_b32 v[24:25], v31 offset0:56 offset1:119
	s_and_saveexec_b32 s1, s0
	s_cbranch_execz .LBB0_27
; %bb.26:
	v_add_nc_u32_e32 v0, 0x100, v26
	v_add_nc_u32_e32 v1, 0x700, v26
	;; [unrolled: 1-line block ×3, first 2 shown]
	ds_read_b32 v27, v26 offset:4824
	ds_read2_b32 v[2:3], v0 offset0:62 offset1:242
	ds_read2_b32 v[4:5], v1 offset0:38 offset1:218
	;; [unrolled: 1-line block ×3, first 2 shown]
	s_waitcnt lgkmcnt(3)
	v_lshrrev_b32_e32 v28, 16, v27
	s_waitcnt lgkmcnt(2)
	v_lshrrev_b32_e32 v35, 16, v2
	v_lshrrev_b32_e32 v38, 16, v3
	s_waitcnt lgkmcnt(1)
	v_lshrrev_b32_e32 v20, 16, v4
	v_lshrrev_b32_e32 v37, 16, v5
	s_waitcnt lgkmcnt(0)
	v_lshrrev_b32_e32 v34, 16, v0
	v_lshrrev_b32_e32 v36, 16, v1
	v_mov_b32_e32 v21, v0
.LBB0_27:
	s_or_b32 exec_lo, exec_lo, s1
	v_mul_u32_u24_e32 v0, 6, v16
	s_waitcnt lgkmcnt(0)
	v_lshrrev_b32_e32 v56, 16, v24
	v_lshrrev_b32_e32 v57, 16, v22
	v_lshrrev_b32_e32 v58, 16, v14
	v_lshrrev_b32_e32 v59, 16, v12
	v_lshlrev_b32_e32 v0, 2, v0
	v_lshrrev_b32_e32 v60, 16, v8
	v_lshrrev_b32_e32 v61, 16, v10
	;; [unrolled: 1-line block ×4, first 2 shown]
	s_clause 0x1
	global_load_dwordx4 v[39:42], v0, s[8:9] offset:712
	global_load_dwordx2 v[47:48], v0, s[8:9] offset:728
	v_add_co_u32 v0, s1, s8, v0
	v_add_co_ci_u32_e64 v43, null, s9, 0, s1
	v_lshrrev_b32_e32 v53, 16, v25
	v_add_co_u32 v49, s1, 0x5e8, v0
	v_add_co_ci_u32_e64 v50, s1, 0, v43, s1
	v_lshrrev_b32_e32 v0, 16, v13
	v_lshrrev_b32_e32 v54, 16, v11
	s_clause 0x1
	global_load_dwordx4 v[43:46], v[49:50], off offset:712
	global_load_dwordx2 v[49:50], v[49:50], off offset:728
	v_lshrrev_b32_e32 v55, 16, v9
	s_waitcnt vmcnt(0)
	s_barrier
	buffer_gl0_inv
	v_mul_f16_sdwa v62, v39, v60 dst_sel:DWORD dst_unused:UNUSED_PAD src0_sel:WORD_1 src1_sel:DWORD
	v_mul_f16_sdwa v63, v39, v8 dst_sel:DWORD dst_unused:UNUSED_PAD src0_sel:WORD_1 src1_sel:DWORD
	v_mul_f16_sdwa v64, v40, v61 dst_sel:DWORD dst_unused:UNUSED_PAD src0_sel:WORD_1 src1_sel:DWORD
	v_mul_f16_sdwa v65, v40, v10 dst_sel:DWORD dst_unused:UNUSED_PAD src0_sel:WORD_1 src1_sel:DWORD
	v_mul_f16_sdwa v66, v41, v59 dst_sel:DWORD dst_unused:UNUSED_PAD src0_sel:WORD_1 src1_sel:DWORD
	v_mul_f16_sdwa v67, v41, v12 dst_sel:DWORD dst_unused:UNUSED_PAD src0_sel:WORD_1 src1_sel:DWORD
	v_mul_f16_sdwa v68, v42, v58 dst_sel:DWORD dst_unused:UNUSED_PAD src0_sel:WORD_1 src1_sel:DWORD
	v_mul_f16_sdwa v69, v42, v14 dst_sel:DWORD dst_unused:UNUSED_PAD src0_sel:WORD_1 src1_sel:DWORD
	v_mul_f16_sdwa v70, v47, v57 dst_sel:DWORD dst_unused:UNUSED_PAD src0_sel:WORD_1 src1_sel:DWORD
	v_mul_f16_sdwa v71, v47, v22 dst_sel:DWORD dst_unused:UNUSED_PAD src0_sel:WORD_1 src1_sel:DWORD
	v_mul_f16_sdwa v72, v48, v56 dst_sel:DWORD dst_unused:UNUSED_PAD src0_sel:WORD_1 src1_sel:DWORD
	v_mul_f16_sdwa v73, v48, v24 dst_sel:DWORD dst_unused:UNUSED_PAD src0_sel:WORD_1 src1_sel:DWORD
	v_fmac_f16_e32 v62, v39, v8
	v_fma_f16 v8, v39, v60, -v63
	v_fmac_f16_e32 v64, v40, v10
	v_fma_f16 v10, v40, v61, -v65
	;; [unrolled: 2-line block ×6, first 2 shown]
	v_mul_f16_sdwa v39, v43, v55 dst_sel:DWORD dst_unused:UNUSED_PAD src0_sel:WORD_1 src1_sel:DWORD
	v_mul_f16_sdwa v40, v43, v9 dst_sel:DWORD dst_unused:UNUSED_PAD src0_sel:WORD_1 src1_sel:DWORD
	;; [unrolled: 1-line block ×4, first 2 shown]
	v_mul_f16_sdwa v47, v0, v45 dst_sel:DWORD dst_unused:UNUSED_PAD src0_sel:DWORD src1_sel:WORD_1
	v_mul_f16_sdwa v48, v13, v45 dst_sel:DWORD dst_unused:UNUSED_PAD src0_sel:DWORD src1_sel:WORD_1
	;; [unrolled: 1-line block ×8, first 2 shown]
	v_add_f16_e32 v63, v62, v72
	v_add_f16_e32 v65, v8, v24
	v_sub_f16_e32 v62, v62, v72
	v_sub_f16_e32 v8, v8, v24
	v_add_f16_e32 v24, v64, v70
	v_add_f16_e32 v67, v10, v22
	v_sub_f16_e32 v64, v64, v70
	v_sub_f16_e32 v10, v10, v22
	;; [unrolled: 4-line block ×3, first 2 shown]
	v_fmac_f16_e32 v39, v43, v9
	v_fma_f16 v9, v43, v55, -v40
	v_fmac_f16_e32 v41, v44, v11
	v_fma_f16 v11, v44, v54, -v42
	;; [unrolled: 2-line block ×6, first 2 shown]
	v_add_f16_e32 v23, v24, v63
	v_add_f16_e32 v25, v67, v65
	v_sub_f16_e32 v40, v24, v63
	v_sub_f16_e32 v43, v63, v22
	;; [unrolled: 1-line block ×5, first 2 shown]
	v_add_f16_e32 v46, v66, v64
	v_add_f16_e32 v48, v12, v10
	v_sub_f16_e32 v49, v66, v64
	v_sub_f16_e32 v50, v12, v10
	v_sub_f16_e32 v52, v64, v62
	v_sub_f16_e32 v10, v10, v8
	v_sub_f16_e32 v42, v67, v65
	v_sub_f16_e32 v51, v62, v66
	v_sub_f16_e32 v12, v8, v12
	v_add_f16_e32 v22, v22, v23
	v_add_f16_e32 v23, v69, v25
	v_add_f16_e32 v25, v46, v62
	v_add_f16_e32 v8, v48, v8
	v_mul_f16_e32 v43, 0x3a52, v43
	v_mul_f16_e32 v44, 0x3a52, v44
	;; [unrolled: 1-line block ×8, first 2 shown]
	v_add_f16_e32 v55, v39, v60
	v_add_f16_e32 v57, v9, v15
	v_sub_f16_e32 v9, v9, v15
	v_add_f16_e32 v15, v41, v58
	v_add_f16_e32 v59, v11, v14
	v_sub_f16_e32 v41, v41, v58
	v_sub_f16_e32 v11, v11, v14
	v_add_f16_e32 v14, v47, v56
	v_add_f16_e32 v58, v0, v13
	v_sub_f16_e32 v47, v56, v47
	v_sub_f16_e32 v0, v13, v0
	v_add_f16_e32 v13, v22, v6
	v_add_f16_sdwa v6, v23, v6 dst_sel:DWORD dst_unused:UNUSED_PAD src0_sel:DWORD src1_sel:WORD_1
	v_fmamk_f16 v24, v24, 0x2b26, v43
	v_fmamk_f16 v45, v45, 0x2b26, v44
	v_fma_f16 v46, v40, 0x39e0, -v46
	v_fma_f16 v48, v42, 0x39e0, -v48
	;; [unrolled: 1-line block ×4, first 2 shown]
	v_fmamk_f16 v43, v51, 0xb574, v49
	v_fmamk_f16 v44, v12, 0xb574, v50
	v_fma_f16 v49, v52, 0xbb00, -v49
	v_fma_f16 v10, v10, 0xbb00, -v50
	;; [unrolled: 1-line block ×4, first 2 shown]
	v_add_f16_e32 v51, v15, v55
	v_add_f16_e32 v52, v59, v57
	v_sub_f16_e32 v39, v39, v60
	v_sub_f16_e32 v53, v15, v55
	;; [unrolled: 1-line block ×7, first 2 shown]
	v_add_f16_e32 v59, v47, v41
	v_add_f16_e32 v60, v0, v11
	v_sub_f16_e32 v61, v47, v41
	v_sub_f16_e32 v62, v0, v11
	;; [unrolled: 1-line block ×3, first 2 shown]
	v_fmamk_f16 v22, v22, 0xbcab, v13
	v_fmamk_f16 v23, v23, 0xbcab, v6
	v_fmac_f16_e32 v44, 0xb70e, v8
	v_fmac_f16_e32 v10, 0xb70e, v8
	;; [unrolled: 1-line block ×3, first 2 shown]
	v_add_f16_e32 v8, v14, v51
	v_add_f16_e32 v14, v58, v52
	v_sub_f16_e32 v41, v41, v39
	v_sub_f16_e32 v47, v39, v47
	;; [unrolled: 1-line block ×3, first 2 shown]
	v_fmac_f16_e32 v43, 0xb70e, v25
	v_fmac_f16_e32 v49, 0xb70e, v25
	;; [unrolled: 1-line block ×3, first 2 shown]
	v_add_f16_e32 v25, v59, v39
	v_add_f16_e32 v9, v60, v9
	v_mul_f16_e32 v39, 0x3a52, v55
	v_mul_f16_e32 v51, 0x3a52, v56
	v_mul_f16_e32 v52, 0x2b26, v15
	v_mul_f16_e32 v55, 0x2b26, v57
	v_mul_f16_e32 v56, 0x3846, v61
	v_mul_f16_e32 v58, 0x3846, v62
	v_mul_f16_e32 v60, 0xbb00, v11
	v_pack_b32_f16 v6, v13, v6
	v_add_f16_e32 v13, v24, v22
	v_add_f16_e32 v24, v45, v23
	;; [unrolled: 1-line block ×5, first 2 shown]
	v_add_f16_sdwa v7, v14, v7 dst_sel:DWORD dst_unused:UNUSED_PAD src0_sel:DWORD src1_sel:WORD_1
	v_mul_f16_e32 v59, 0xbb00, v41
	v_add_f16_e32 v46, v48, v23
	v_add_f16_e32 v23, v42, v23
	v_fmamk_f16 v15, v15, 0x2b26, v39
	v_fmamk_f16 v42, v57, 0x2b26, v51
	v_fma_f16 v48, v53, 0x39e0, -v52
	v_fma_f16 v52, v54, 0x39e0, -v55
	;; [unrolled: 1-line block ×4, first 2 shown]
	v_fmamk_f16 v53, v47, 0xb574, v56
	v_fmamk_f16 v54, v0, 0xb574, v58
	v_fma_f16 v11, v11, 0xbb00, -v58
	v_fma_f16 v0, v0, 0x3574, -v60
	v_fmamk_f16 v8, v8, 0xbcab, v40
	v_fmamk_f16 v14, v14, 0xbcab, v7
	v_fma_f16 v41, v41, 0xbb00, -v56
	v_fma_f16 v47, v47, 0x3574, -v59
	v_fmac_f16_e32 v53, 0xb70e, v25
	v_fmac_f16_e32 v54, 0xb70e, v9
	;; [unrolled: 1-line block ×4, first 2 shown]
	v_pack_b32_f16 v7, v40, v7
	v_add_f16_e32 v9, v15, v8
	v_add_f16_e32 v15, v42, v14
	;; [unrolled: 1-line block ×3, first 2 shown]
	v_sub_f16_e32 v56, v24, v43
	v_add_f16_e32 v57, v12, v22
	v_sub_f16_e32 v58, v23, v50
	v_sub_f16_e32 v12, v22, v12
	v_add_f16_e32 v22, v50, v23
	v_sub_f16_e32 v13, v13, v44
	v_add_f16_e32 v23, v43, v24
	v_fmac_f16_e32 v41, 0xb70e, v25
	v_fmac_f16_e32 v47, 0xb70e, v25
	v_add_f16_e32 v24, v48, v8
	v_add_f16_e32 v25, v52, v14
	;; [unrolled: 1-line block ×4, first 2 shown]
	ds_write2_b32 v26, v6, v7 offset1:63
	v_add_f16_e32 v6, v54, v9
	v_sub_f16_e32 v7, v15, v53
	v_pack_b32_f16 v12, v12, v22
	v_pack_b32_f16 v13, v13, v23
	v_add_f16_e32 v22, v0, v8
	v_sub_f16_e32 v23, v14, v47
	v_sub_f16_e32 v59, v45, v10
	v_add_f16_e32 v60, v49, v46
	v_sub_f16_e32 v43, v24, v11
	v_add_f16_e32 v44, v41, v25
	v_add_f16_e32 v10, v10, v45
	v_sub_f16_e32 v45, v46, v49
	v_add_f16_e32 v11, v11, v24
	v_sub_f16_e32 v24, v25, v41
	v_sub_f16_e32 v0, v8, v0
	v_add_f16_e32 v8, v47, v14
	v_pack_b32_f16 v39, v55, v56
	v_sub_f16_e32 v9, v9, v54
	v_add_f16_e32 v14, v53, v15
	v_pack_b32_f16 v6, v6, v7
	v_pack_b32_f16 v40, v57, v58
	;; [unrolled: 1-line block ×9, first 2 shown]
	ds_write2_b32 v26, v39, v6 offset0:180 offset1:243
	ds_write2_b32 v32, v40, v7 offset0:104 offset1:167
	;; [unrolled: 1-line block ×6, first 2 shown]
	s_and_saveexec_b32 s1, s0
	s_cbranch_execz .LBB0_29
; %bb.28:
	v_subrev_nc_u32_e32 v0, 54, v16
	v_mov_b32_e32 v7, 0
	v_add_nc_u32_e32 v12, 0x700, v26
	v_add_nc_u32_e32 v13, 0xd00, v26
	v_cndmask_b32_e64 v0, v0, v17, s0
	v_mul_i32_i24_e32 v6, 6, v0
	v_add_nc_u32_e32 v0, 0x100, v26
	v_lshlrev_b64 v[6:7], 2, v[6:7]
	v_add_co_u32 v10, s0, s8, v6
	v_add_co_ci_u32_e64 v11, s0, s9, v7, s0
	s_clause 0x1
	global_load_dwordx4 v[6:9], v[10:11], off offset:712
	global_load_dwordx2 v[10:11], v[10:11], off offset:728
	s_waitcnt vmcnt(1)
	v_mul_f16_sdwa v14, v38, v6 dst_sel:DWORD dst_unused:UNUSED_PAD src0_sel:DWORD src1_sel:WORD_1
	s_waitcnt vmcnt(0)
	v_mul_f16_sdwa v15, v28, v11 dst_sel:DWORD dst_unused:UNUSED_PAD src0_sel:DWORD src1_sel:WORD_1
	v_mul_f16_sdwa v17, v34, v9 dst_sel:DWORD dst_unused:UNUSED_PAD src0_sel:DWORD src1_sel:WORD_1
	;; [unrolled: 1-line block ×11, first 2 shown]
	v_fmac_f16_e32 v14, v3, v6
	v_fmac_f16_e32 v15, v27, v11
	;; [unrolled: 1-line block ×6, first 2 shown]
	v_fma_f16 v1, v28, v11, -v25
	v_fma_f16 v3, v38, v6, -v29
	;; [unrolled: 1-line block ×6, first 2 shown]
	v_sub_f16_e32 v8, v14, v15
	v_sub_f16_e32 v9, v17, v22
	v_add_f16_e32 v11, v3, v1
	v_add_f16_e32 v21, v7, v6
	;; [unrolled: 1-line block ×5, first 2 shown]
	v_sub_f16_e32 v10, v23, v24
	v_add_f16_e32 v20, v4, v5
	v_sub_f16_e32 v1, v3, v1
	v_sub_f16_e32 v3, v5, v4
	;; [unrolled: 1-line block ×3, first 2 shown]
	v_add_f16_e32 v23, v21, v11
	v_add_f16_e32 v27, v17, v14
	v_sub_f16_e32 v5, v8, v9
	v_sub_f16_e32 v6, v9, v10
	v_add_f16_e32 v7, v9, v10
	v_sub_f16_e32 v9, v11, v20
	v_sub_f16_e32 v22, v20, v21
	;; [unrolled: 1-line block ×6, first 2 shown]
	v_add_f16_e32 v3, v3, v4
	v_sub_f16_e32 v10, v10, v8
	v_sub_f16_e32 v14, v17, v14
	;; [unrolled: 1-line block ×3, first 2 shown]
	v_add_f16_e32 v17, v20, v23
	v_add_f16_e32 v15, v15, v27
	v_sub_f16_e32 v11, v21, v11
	v_mul_f16_e32 v6, 0x3846, v6
	v_add_f16_e32 v7, v7, v8
	v_mul_f16_e32 v8, 0x3a52, v9
	v_mul_f16_e32 v9, 0x2b26, v22
	;; [unrolled: 1-line block ×5, first 2 shown]
	v_add_f16_e32 v1, v3, v1
	v_mul_f16_e32 v3, 0xbb00, v10
	v_mul_f16_e32 v24, 0xbb00, v4
	v_add_f16_e32 v29, v35, v17
	v_add_f16_e32 v2, v2, v15
	v_fmamk_f16 v27, v5, 0xb574, v6
	v_fmamk_f16 v22, v22, 0x2b26, v8
	;; [unrolled: 1-line block ×4, first 2 shown]
	v_fma_f16 v3, v5, 0x3574, -v3
	v_fma_f16 v5, v11, 0xb9e0, -v8
	;; [unrolled: 1-line block ×8, first 2 shown]
	v_fmamk_f16 v11, v17, 0xbcab, v29
	v_fmamk_f16 v14, v15, 0xbcab, v2
	v_fmac_f16_e32 v27, 0xb70e, v7
	v_fmac_f16_e32 v30, 0xb70e, v1
	;; [unrolled: 1-line block ×6, first 2 shown]
	v_pack_b32_f16 v1, v2, v29
	v_add_f16_e32 v2, v22, v11
	v_add_f16_e32 v7, v25, v14
	;; [unrolled: 1-line block ×8, first 2 shown]
	v_sub_f16_e32 v3, v5, v3
	v_sub_f16_e32 v2, v2, v27
	v_add_f16_e32 v5, v30, v7
	v_sub_f16_e32 v14, v7, v30
	v_sub_f16_e32 v17, v9, v6
	v_add_f16_e32 v6, v6, v9
	v_add_f16_e32 v7, v20, v8
	v_sub_f16_e32 v9, v10, v4
	v_add_f16_e32 v4, v4, v10
	v_sub_f16_e32 v8, v8, v20
	v_pack_b32_f16 v2, v5, v2
	v_pack_b32_f16 v3, v7, v3
	;; [unrolled: 1-line block ×6, first 2 shown]
	ds_write2_b32 v0, v1, v2 offset0:62 offset1:242
	ds_write2_b32 v12, v3, v5 offset0:38 offset1:218
	;; [unrolled: 1-line block ×3, first 2 shown]
	ds_write_b32 v26, v7 offset:4824
.LBB0_29:
	s_or_b32 exec_lo, exec_lo, s1
	s_waitcnt lgkmcnt(0)
	s_barrier
	buffer_gl0_inv
	s_and_saveexec_b32 s0, vcc_lo
	s_cbranch_execz .LBB0_31
; %bb.30:
	v_lshl_add_u32 v20, v16, 2, 0
	v_mov_b32_e32 v17, 0
	v_add_nc_u32_e32 v0, 63, v16
	v_add_co_u32 v18, vcc_lo, s2, v18
	ds_read2_b32 v[2:3], v20 offset1:63
	v_mov_b32_e32 v1, v17
	ds_read2_b32 v[8:9], v20 offset0:126 offset1:189
	v_lshlrev_b64 v[4:5], 2, v[16:17]
	v_add_nc_u32_e32 v6, 0x7e, v16
	v_mov_b32_e32 v7, v17
	v_add_co_ci_u32_e32 v19, vcc_lo, s3, v19, vcc_lo
	v_lshlrev_b64 v[0:1], 2, v[0:1]
	v_add_co_u32 v4, vcc_lo, v18, v4
	v_lshlrev_b64 v[6:7], 2, v[6:7]
	v_add_co_ci_u32_e32 v5, vcc_lo, v19, v5, vcc_lo
	v_add_co_u32 v0, vcc_lo, v18, v0
	v_add_co_ci_u32_e32 v1, vcc_lo, v19, v1, vcc_lo
	v_add_co_u32 v6, vcc_lo, v18, v6
	v_add_co_ci_u32_e32 v7, vcc_lo, v19, v7, vcc_lo
	v_add_nc_u32_e32 v10, 0xbd, v16
	v_mov_b32_e32 v11, v17
	s_waitcnt lgkmcnt(1)
	global_store_dword v[4:5], v2, off
	global_store_dword v[0:1], v3, off
	s_waitcnt lgkmcnt(0)
	global_store_dword v[6:7], v8, off
	v_add_nc_u32_e32 v6, 0x200, v20
	v_add_nc_u32_e32 v8, 0x400, v20
	;; [unrolled: 1-line block ×3, first 2 shown]
	v_mov_b32_e32 v3, v17
	v_lshlrev_b64 v[0:1], 2, v[10:11]
	ds_read2_b32 v[6:7], v6 offset0:124 offset1:187
	v_add_nc_u32_e32 v4, 0x13b, v16
	v_mov_b32_e32 v5, v17
	ds_read2_b32 v[12:13], v8 offset0:122 offset1:185
	v_lshlrev_b64 v[2:3], 2, v[2:3]
	v_add_nc_u32_e32 v10, 0x17a, v16
	v_add_co_u32 v0, vcc_lo, v18, v0
	v_lshlrev_b64 v[4:5], 2, v[4:5]
	v_add_co_ci_u32_e32 v1, vcc_lo, v19, v1, vcc_lo
	v_add_co_u32 v2, vcc_lo, v18, v2
	v_lshlrev_b64 v[10:11], 2, v[10:11]
	v_add_co_ci_u32_e32 v3, vcc_lo, v19, v3, vcc_lo
	v_add_co_u32 v4, vcc_lo, v18, v4
	v_add_co_ci_u32_e32 v5, vcc_lo, v19, v5, vcc_lo
	v_add_co_u32 v10, vcc_lo, v18, v10
	v_add_co_ci_u32_e32 v11, vcc_lo, v19, v11, vcc_lo
	v_add_nc_u32_e32 v14, 0x1b9, v16
	v_mov_b32_e32 v15, v17
	global_store_dword v[0:1], v9, off
	s_waitcnt lgkmcnt(1)
	global_store_dword v[2:3], v6, off
	global_store_dword v[4:5], v7, off
	s_waitcnt lgkmcnt(0)
	global_store_dword v[10:11], v12, off
	v_add_nc_u32_e32 v6, 0x600, v20
	v_add_nc_u32_e32 v9, 0x800, v20
	;; [unrolled: 1-line block ×3, first 2 shown]
	v_mov_b32_e32 v3, v17
	v_lshlrev_b64 v[0:1], 2, v[14:15]
	ds_read2_b32 v[6:7], v6 offset0:120 offset1:183
	v_add_nc_u32_e32 v4, 0x237, v16
	v_mov_b32_e32 v5, v17
	ds_read2_b32 v[10:11], v9 offset0:118 offset1:181
	v_lshlrev_b64 v[2:3], 2, v[2:3]
	v_add_nc_u32_e32 v8, 0x276, v16
	v_mov_b32_e32 v9, v17
	v_add_co_u32 v0, vcc_lo, v18, v0
	v_lshlrev_b64 v[4:5], 2, v[4:5]
	v_add_co_ci_u32_e32 v1, vcc_lo, v19, v1, vcc_lo
	v_add_co_u32 v2, vcc_lo, v18, v2
	v_lshlrev_b64 v[8:9], 2, v[8:9]
	v_add_co_ci_u32_e32 v3, vcc_lo, v19, v3, vcc_lo
	v_add_co_u32 v4, vcc_lo, v18, v4
	v_add_co_ci_u32_e32 v5, vcc_lo, v19, v5, vcc_lo
	v_add_co_u32 v8, vcc_lo, v18, v8
	v_add_co_ci_u32_e32 v9, vcc_lo, v19, v9, vcc_lo
	v_add_nc_u32_e32 v14, 0x2b5, v16
	global_store_dword v[0:1], v13, off
	s_waitcnt lgkmcnt(1)
	global_store_dword v[2:3], v6, off
	global_store_dword v[4:5], v7, off
	s_waitcnt lgkmcnt(0)
	global_store_dword v[8:9], v10, off
	v_add_nc_u32_e32 v6, 0xa00, v20
	v_add_nc_u32_e32 v9, 0xc00, v20
	;; [unrolled: 1-line block ×3, first 2 shown]
	v_mov_b32_e32 v3, v17
	v_lshlrev_b64 v[0:1], 2, v[14:15]
	ds_read2_b32 v[6:7], v6 offset0:116 offset1:179
	v_add_nc_u32_e32 v4, 0x333, v16
	v_mov_b32_e32 v5, v17
	ds_read2_b32 v[12:13], v9 offset0:114 offset1:177
	v_lshlrev_b64 v[2:3], 2, v[2:3]
	v_add_nc_u32_e32 v8, 0x372, v16
	v_mov_b32_e32 v9, v17
	v_add_co_u32 v0, vcc_lo, v18, v0
	v_lshlrev_b64 v[4:5], 2, v[4:5]
	v_add_co_ci_u32_e32 v1, vcc_lo, v19, v1, vcc_lo
	v_add_co_u32 v2, vcc_lo, v18, v2
	v_lshlrev_b64 v[8:9], 2, v[8:9]
	v_add_co_ci_u32_e32 v3, vcc_lo, v19, v3, vcc_lo
	v_add_co_u32 v4, vcc_lo, v18, v4
	v_add_co_ci_u32_e32 v5, vcc_lo, v19, v5, vcc_lo
	v_add_co_u32 v8, vcc_lo, v18, v8
	v_add_co_ci_u32_e32 v9, vcc_lo, v19, v9, vcc_lo
	v_add_nc_u32_e32 v14, 0x3b1, v16
	global_store_dword v[0:1], v11, off
	s_waitcnt lgkmcnt(1)
	global_store_dword v[2:3], v6, off
	global_store_dword v[4:5], v7, off
	s_waitcnt lgkmcnt(0)
	global_store_dword v[8:9], v12, off
	v_add_nc_u32_e32 v6, 0xe00, v20
	v_add_nc_u32_e32 v2, 0x3f0, v16
	v_mov_b32_e32 v3, v17
	v_add_nc_u32_e32 v10, 0x1000, v20
	v_lshlrev_b64 v[0:1], 2, v[14:15]
	v_add_nc_u32_e32 v4, 0x42f, v16
	v_mov_b32_e32 v5, v17
	ds_read2_b32 v[6:7], v6 offset0:112 offset1:175
	v_lshlrev_b64 v[2:3], 2, v[2:3]
	v_add_nc_u32_e32 v8, 0x46e, v16
	v_mov_b32_e32 v9, v17
	ds_read2_b32 v[10:11], v10 offset0:110 offset1:173
	v_add_co_u32 v0, vcc_lo, v18, v0
	v_lshlrev_b64 v[4:5], 2, v[4:5]
	v_add_nc_u32_e32 v16, 0x4ad, v16
	v_add_co_ci_u32_e32 v1, vcc_lo, v19, v1, vcc_lo
	v_add_co_u32 v2, vcc_lo, v18, v2
	v_lshlrev_b64 v[8:9], 2, v[8:9]
	v_add_co_ci_u32_e32 v3, vcc_lo, v19, v3, vcc_lo
	v_add_co_u32 v4, vcc_lo, v18, v4
	v_lshlrev_b64 v[14:15], 2, v[16:17]
	v_add_co_ci_u32_e32 v5, vcc_lo, v19, v5, vcc_lo
	v_add_co_u32 v8, vcc_lo, v18, v8
	v_add_co_ci_u32_e32 v9, vcc_lo, v19, v9, vcc_lo
	v_add_co_u32 v14, vcc_lo, v18, v14
	v_add_co_ci_u32_e32 v15, vcc_lo, v19, v15, vcc_lo
	global_store_dword v[0:1], v13, off
	s_waitcnt lgkmcnt(1)
	global_store_dword v[2:3], v6, off
	global_store_dword v[4:5], v7, off
	s_waitcnt lgkmcnt(0)
	global_store_dword v[8:9], v10, off
	global_store_dword v[14:15], v11, off
.LBB0_31:
	s_endpgm
	.section	.rodata,"a",@progbits
	.p2align	6, 0x0
	.amdhsa_kernel fft_rtc_back_len1260_factors_2_2_3_3_5_7_wgs_63_tpt_63_halfLds_half_ip_CI_unitstride_sbrr_C2R_dirReg
		.amdhsa_group_segment_fixed_size 0
		.amdhsa_private_segment_fixed_size 0
		.amdhsa_kernarg_size 88
		.amdhsa_user_sgpr_count 6
		.amdhsa_user_sgpr_private_segment_buffer 1
		.amdhsa_user_sgpr_dispatch_ptr 0
		.amdhsa_user_sgpr_queue_ptr 0
		.amdhsa_user_sgpr_kernarg_segment_ptr 1
		.amdhsa_user_sgpr_dispatch_id 0
		.amdhsa_user_sgpr_flat_scratch_init 0
		.amdhsa_user_sgpr_private_segment_size 0
		.amdhsa_wavefront_size32 1
		.amdhsa_uses_dynamic_stack 0
		.amdhsa_system_sgpr_private_segment_wavefront_offset 0
		.amdhsa_system_sgpr_workgroup_id_x 1
		.amdhsa_system_sgpr_workgroup_id_y 0
		.amdhsa_system_sgpr_workgroup_id_z 0
		.amdhsa_system_sgpr_workgroup_info 0
		.amdhsa_system_vgpr_workitem_id 0
		.amdhsa_next_free_vgpr 98
		.amdhsa_next_free_sgpr 21
		.amdhsa_reserve_vcc 1
		.amdhsa_reserve_flat_scratch 0
		.amdhsa_float_round_mode_32 0
		.amdhsa_float_round_mode_16_64 0
		.amdhsa_float_denorm_mode_32 3
		.amdhsa_float_denorm_mode_16_64 3
		.amdhsa_dx10_clamp 1
		.amdhsa_ieee_mode 1
		.amdhsa_fp16_overflow 0
		.amdhsa_workgroup_processor_mode 1
		.amdhsa_memory_ordered 1
		.amdhsa_forward_progress 0
		.amdhsa_shared_vgpr_count 0
		.amdhsa_exception_fp_ieee_invalid_op 0
		.amdhsa_exception_fp_denorm_src 0
		.amdhsa_exception_fp_ieee_div_zero 0
		.amdhsa_exception_fp_ieee_overflow 0
		.amdhsa_exception_fp_ieee_underflow 0
		.amdhsa_exception_fp_ieee_inexact 0
		.amdhsa_exception_int_div_zero 0
	.end_amdhsa_kernel
	.text
.Lfunc_end0:
	.size	fft_rtc_back_len1260_factors_2_2_3_3_5_7_wgs_63_tpt_63_halfLds_half_ip_CI_unitstride_sbrr_C2R_dirReg, .Lfunc_end0-fft_rtc_back_len1260_factors_2_2_3_3_5_7_wgs_63_tpt_63_halfLds_half_ip_CI_unitstride_sbrr_C2R_dirReg
                                        ; -- End function
	.section	.AMDGPU.csdata,"",@progbits
; Kernel info:
; codeLenInByte = 15036
; NumSgprs: 23
; NumVgprs: 98
; ScratchSize: 0
; MemoryBound: 0
; FloatMode: 240
; IeeeMode: 1
; LDSByteSize: 0 bytes/workgroup (compile time only)
; SGPRBlocks: 2
; VGPRBlocks: 12
; NumSGPRsForWavesPerEU: 23
; NumVGPRsForWavesPerEU: 98
; Occupancy: 9
; WaveLimiterHint : 1
; COMPUTE_PGM_RSRC2:SCRATCH_EN: 0
; COMPUTE_PGM_RSRC2:USER_SGPR: 6
; COMPUTE_PGM_RSRC2:TRAP_HANDLER: 0
; COMPUTE_PGM_RSRC2:TGID_X_EN: 1
; COMPUTE_PGM_RSRC2:TGID_Y_EN: 0
; COMPUTE_PGM_RSRC2:TGID_Z_EN: 0
; COMPUTE_PGM_RSRC2:TIDIG_COMP_CNT: 0
	.text
	.p2alignl 6, 3214868480
	.fill 48, 4, 3214868480
	.type	__hip_cuid_d12d898d893bad2,@object ; @__hip_cuid_d12d898d893bad2
	.section	.bss,"aw",@nobits
	.globl	__hip_cuid_d12d898d893bad2
__hip_cuid_d12d898d893bad2:
	.byte	0                               ; 0x0
	.size	__hip_cuid_d12d898d893bad2, 1

	.ident	"AMD clang version 19.0.0git (https://github.com/RadeonOpenCompute/llvm-project roc-6.4.0 25133 c7fe45cf4b819c5991fe208aaa96edf142730f1d)"
	.section	".note.GNU-stack","",@progbits
	.addrsig
	.addrsig_sym __hip_cuid_d12d898d893bad2
	.amdgpu_metadata
---
amdhsa.kernels:
  - .args:
      - .actual_access:  read_only
        .address_space:  global
        .offset:         0
        .size:           8
        .value_kind:     global_buffer
      - .offset:         8
        .size:           8
        .value_kind:     by_value
      - .actual_access:  read_only
        .address_space:  global
        .offset:         16
        .size:           8
        .value_kind:     global_buffer
      - .actual_access:  read_only
        .address_space:  global
        .offset:         24
        .size:           8
        .value_kind:     global_buffer
      - .offset:         32
        .size:           8
        .value_kind:     by_value
      - .actual_access:  read_only
        .address_space:  global
        .offset:         40
        .size:           8
        .value_kind:     global_buffer
      - .actual_access:  read_only
        .address_space:  global
        .offset:         48
        .size:           8
        .value_kind:     global_buffer
      - .offset:         56
        .size:           4
        .value_kind:     by_value
      - .actual_access:  read_only
        .address_space:  global
        .offset:         64
        .size:           8
        .value_kind:     global_buffer
      - .actual_access:  read_only
        .address_space:  global
        .offset:         72
        .size:           8
        .value_kind:     global_buffer
      - .address_space:  global
        .offset:         80
        .size:           8
        .value_kind:     global_buffer
    .group_segment_fixed_size: 0
    .kernarg_segment_align: 8
    .kernarg_segment_size: 88
    .language:       OpenCL C
    .language_version:
      - 2
      - 0
    .max_flat_workgroup_size: 63
    .name:           fft_rtc_back_len1260_factors_2_2_3_3_5_7_wgs_63_tpt_63_halfLds_half_ip_CI_unitstride_sbrr_C2R_dirReg
    .private_segment_fixed_size: 0
    .sgpr_count:     23
    .sgpr_spill_count: 0
    .symbol:         fft_rtc_back_len1260_factors_2_2_3_3_5_7_wgs_63_tpt_63_halfLds_half_ip_CI_unitstride_sbrr_C2R_dirReg.kd
    .uniform_work_group_size: 1
    .uses_dynamic_stack: false
    .vgpr_count:     98
    .vgpr_spill_count: 0
    .wavefront_size: 32
    .workgroup_processor_mode: 1
amdhsa.target:   amdgcn-amd-amdhsa--gfx1030
amdhsa.version:
  - 1
  - 2
...

	.end_amdgpu_metadata
